;; amdgpu-corpus repo=ROCm/rocFFT kind=compiled arch=gfx906 opt=O3
	.text
	.amdgcn_target "amdgcn-amd-amdhsa--gfx906"
	.amdhsa_code_object_version 6
	.protected	bluestein_single_fwd_len1445_dim1_sp_op_CI_CI ; -- Begin function bluestein_single_fwd_len1445_dim1_sp_op_CI_CI
	.globl	bluestein_single_fwd_len1445_dim1_sp_op_CI_CI
	.p2align	8
	.type	bluestein_single_fwd_len1445_dim1_sp_op_CI_CI,@function
bluestein_single_fwd_len1445_dim1_sp_op_CI_CI: ; @bluestein_single_fwd_len1445_dim1_sp_op_CI_CI
; %bb.0:
	s_load_dwordx4 s[8:11], s[4:5], 0x28
	v_mul_u32_u24_e32 v1, 0x304, v0
	v_add_u32_sdwa v108, s6, v1 dst_sel:DWORD dst_unused:UNUSED_PAD src0_sel:DWORD src1_sel:WORD_1
	v_mov_b32_e32 v109, 0
	s_waitcnt lgkmcnt(0)
	v_cmp_gt_u64_e32 vcc, s[8:9], v[108:109]
	s_and_saveexec_b64 s[0:1], vcc
	s_cbranch_execz .LBB0_10
; %bb.1:
	s_load_dwordx4 s[0:3], s[4:5], 0x18
	s_load_dwordx4 s[12:15], s[4:5], 0x0
	s_movk_i32 s8, 0x1000
	s_waitcnt lgkmcnt(0)
	s_load_dwordx4 s[16:19], s[0:1], 0x0
	s_movk_i32 s0, 0x55
	v_mul_lo_u16_sdwa v1, v1, s0 dst_sel:DWORD dst_unused:UNUSED_PAD src0_sel:WORD_1 src1_sel:DWORD
	v_sub_u16_e32 v140, v0, v1
	v_lshlrev_b32_e32 v139, 3, v140
	s_waitcnt lgkmcnt(0)
	v_mad_u64_u32 v[0:1], s[0:1], s18, v108, 0
	v_mad_u64_u32 v[2:3], s[0:1], s16, v140, 0
	s_mul_i32 s6, s17, 0x2a8
	s_mul_hi_u32 s7, s16, 0x2a8
	v_mad_u64_u32 v[4:5], s[0:1], s19, v108, v[1:2]
	s_add_i32 s6, s7, s6
	s_mul_i32 s7, s16, 0x2a8
	v_mad_u64_u32 v[5:6], s[0:1], s17, v140, v[3:4]
	v_mov_b32_e32 v1, v4
	v_lshlrev_b64 v[0:1], 3, v[0:1]
	v_mov_b32_e32 v6, s11
	v_mov_b32_e32 v3, v5
	v_add_co_u32_e32 v4, vcc, s10, v0
	v_addc_co_u32_e32 v5, vcc, v6, v1, vcc
	v_lshlrev_b64 v[0:1], 3, v[2:3]
	v_mov_b32_e32 v2, s13
	v_add_co_u32_e32 v0, vcc, v4, v0
	v_add_co_u32_e64 v72, s[0:1], s12, v139
	v_addc_co_u32_e32 v1, vcc, v5, v1, vcc
	v_addc_co_u32_e64 v20, vcc, 0, v2, s[0:1]
	v_mov_b32_e32 v3, s6
	v_add_co_u32_e32 v2, vcc, s7, v0
	v_addc_co_u32_e32 v3, vcc, v1, v3, vcc
	v_mov_b32_e32 v5, s6
	v_add_co_u32_e32 v4, vcc, s7, v2
	v_addc_co_u32_e32 v5, vcc, v3, v5, vcc
	;; [unrolled: 3-line block ×3, first 2 shown]
	global_load_dwordx2 v[8:9], v[0:1], off
	global_load_dwordx2 v[10:11], v[2:3], off
	;; [unrolled: 1-line block ×4, first 2 shown]
	global_load_dwordx2 v[125:126], v139, s[12:13]
	global_load_dwordx2 v[123:124], v139, s[12:13] offset:680
	global_load_dwordx2 v[121:122], v139, s[12:13] offset:1360
	;; [unrolled: 1-line block ×3, first 2 shown]
	v_mov_b32_e32 v1, s6
	v_add_co_u32_e32 v0, vcc, s7, v6
	v_addc_co_u32_e32 v1, vcc, v7, v1, vcc
	global_load_dwordx2 v[2:3], v[0:1], off
	v_mov_b32_e32 v4, s6
	v_add_co_u32_e32 v0, vcc, s7, v0
	v_addc_co_u32_e32 v1, vcc, v1, v4, vcc
	global_load_dwordx2 v[4:5], v[0:1], off
	;; [unrolled: 4-line block ×3, first 2 shown]
	global_load_dwordx2 v[119:120], v139, s[12:13] offset:2720
	global_load_dwordx2 v[113:114], v139, s[12:13] offset:3400
	;; [unrolled: 1-line block ×3, first 2 shown]
	v_mov_b32_e32 v16, s6
	v_add_co_u32_e32 v0, vcc, s7, v0
	v_addc_co_u32_e32 v1, vcc, v1, v16, vcc
	v_add_co_u32_e32 v18, vcc, s8, v72
	v_addc_co_u32_e32 v19, vcc, 0, v20, vcc
	global_load_dwordx2 v[16:17], v[0:1], off
	v_mov_b32_e32 v21, s6
	v_add_co_u32_e32 v0, vcc, s7, v0
	v_addc_co_u32_e32 v1, vcc, v1, v21, vcc
	global_load_dwordx2 v[21:22], v[0:1], off
	v_mov_b32_e32 v23, s6
	;; [unrolled: 4-line block ×3, first 2 shown]
	v_add_co_u32_e32 v0, vcc, s7, v0
	v_addc_co_u32_e32 v1, vcc, v1, v25, vcc
	global_load_dwordx2 v[25:26], v[0:1], off
	global_load_dwordx2 v[117:118], v[18:19], off offset:664
	global_load_dwordx2 v[111:112], v[18:19], off offset:1344
	;; [unrolled: 1-line block ×4, first 2 shown]
	v_mov_b32_e32 v27, s6
	v_add_co_u32_e32 v0, vcc, s7, v0
	v_addc_co_u32_e32 v1, vcc, v1, v27, vcc
	global_load_dwordx2 v[27:28], v[0:1], off
	v_mov_b32_e32 v29, s6
	v_add_co_u32_e32 v0, vcc, s7, v0
	v_addc_co_u32_e32 v1, vcc, v1, v29, vcc
	global_load_dwordx2 v[29:30], v[0:1], off
	global_load_dwordx2 v[104:105], v[18:19], off offset:3384
	global_load_dwordx2 v[98:99], v[18:19], off offset:4064
	v_mov_b32_e32 v18, s6
	v_add_co_u32_e32 v0, vcc, s7, v0
	v_addc_co_u32_e32 v1, vcc, v1, v18, vcc
	s_movk_i32 s8, 0x2000
	v_add_co_u32_e32 v31, vcc, s8, v72
	v_addc_co_u32_e32 v32, vcc, 0, v20, vcc
	global_load_dwordx2 v[18:19], v[0:1], off
	v_mov_b32_e32 v20, s6
	v_add_co_u32_e32 v0, vcc, s7, v0
	v_addc_co_u32_e32 v1, vcc, v1, v20, vcc
	global_load_dwordx2 v[100:101], v[31:32], off offset:648
	global_load_dwordx2 v[33:34], v[0:1], off
	global_load_dwordx2 v[96:97], v[31:32], off offset:1328
	v_add_co_u32_e32 v0, vcc, s7, v0
	v_addc_co_u32_e32 v1, vcc, v1, v20, vcc
	global_load_dwordx2 v[35:36], v[0:1], off
	global_load_dwordx2 v[94:95], v[31:32], off offset:2008
	v_add_co_u32_e32 v0, vcc, s7, v0
	v_addc_co_u32_e32 v1, vcc, v1, v20, vcc
	global_load_dwordx2 v[37:38], v[0:1], off
	global_load_dwordx2 v[92:93], v[31:32], off offset:2688
	s_waitcnt vmcnt(29)
	v_mul_f32_e32 v0, v9, v126
	v_mul_f32_e32 v1, v8, v126
	v_fmac_f32_e32 v0, v8, v125
	v_fma_f32 v1, v9, v125, -v1
	s_waitcnt vmcnt(28)
	v_mul_f32_e32 v8, v11, v124
	v_mul_f32_e32 v9, v10, v124
	v_fmac_f32_e32 v8, v10, v123
	v_fma_f32 v9, v11, v123, -v9
	ds_write2_b64 v139, v[0:1], v[8:9] offset1:85
	s_waitcnt vmcnt(27)
	v_mul_f32_e32 v0, v13, v122
	v_mul_f32_e32 v1, v12, v122
	s_waitcnt vmcnt(26)
	v_mul_f32_e32 v8, v15, v116
	v_mul_f32_e32 v9, v14, v116
	v_fmac_f32_e32 v0, v12, v121
	v_fma_f32 v1, v13, v121, -v1
	v_fmac_f32_e32 v8, v14, v115
	v_fma_f32 v9, v15, v115, -v9
	ds_write2_b64 v139, v[0:1], v[8:9] offset0:170 offset1:255
	s_waitcnt vmcnt(22)
	v_mul_f32_e32 v0, v3, v120
	v_mul_f32_e32 v1, v2, v120
	v_fmac_f32_e32 v0, v2, v119
	v_fma_f32 v1, v3, v119, -v1
	s_waitcnt vmcnt(21)
	v_mul_f32_e32 v2, v5, v114
	v_mul_f32_e32 v3, v4, v114
	v_fmac_f32_e32 v2, v4, v113
	v_fma_f32 v3, v5, v113, -v3
	v_add_u32_e32 v20, 0x800, v139
	ds_write2_b64 v20, v[0:1], v[2:3] offset0:84 offset1:169
	s_waitcnt vmcnt(20)
	v_mul_f32_e32 v0, v7, v110
	v_mul_f32_e32 v1, v6, v110
	v_fmac_f32_e32 v0, v6, v109
	v_fma_f32 v1, v7, v109, -v1
	v_add_u32_e32 v12, 0xc00, v139
	s_load_dwordx4 s[8:11], s[2:3], 0x0
	s_mov_b32 s12, 0x3f6eb680
	s_mov_b32 s3, 0x3f3d2fb0
	;; [unrolled: 1-line block ×3, first 2 shown]
	s_waitcnt vmcnt(15)
	v_mul_f32_e32 v2, v17, v118
	v_mul_f32_e32 v3, v16, v118
	v_fmac_f32_e32 v2, v16, v117
	v_fma_f32 v3, v17, v117, -v3
	ds_write2_b64 v12, v[0:1], v[2:3] offset0:126 offset1:211
	s_waitcnt vmcnt(14)
	v_mul_f32_e32 v0, v22, v112
	v_mul_f32_e32 v1, v21, v112
	s_waitcnt vmcnt(13)
	v_mul_f32_e32 v2, v24, v107
	v_mul_f32_e32 v3, v23, v107
	v_fmac_f32_e32 v0, v21, v111
	v_fma_f32 v1, v22, v111, -v1
	v_fmac_f32_e32 v2, v23, v106
	v_fma_f32 v3, v24, v106, -v3
	v_add_u32_e32 v21, 0x1000, v139
	ds_write2_b64 v21, v[0:1], v[2:3] offset0:168 offset1:253
	s_waitcnt vmcnt(12)
	v_mul_f32_e32 v0, v26, v103
	v_mul_f32_e32 v1, v25, v103
	s_waitcnt vmcnt(9)
	v_mul_f32_e32 v2, v28, v105
	v_mul_f32_e32 v3, v27, v105
	v_fmac_f32_e32 v0, v25, v102
	v_fma_f32 v1, v26, v102, -v1
	v_fmac_f32_e32 v2, v27, v104
	v_fma_f32 v3, v28, v104, -v3
	v_add_u32_e32 v16, 0x1800, v139
	ds_write2_b64 v16, v[0:1], v[2:3] offset0:82 offset1:167
	s_waitcnt vmcnt(8)
	v_mul_f32_e32 v0, v30, v99
	v_mul_f32_e32 v1, v29, v99
	v_fmac_f32_e32 v0, v29, v98
	v_fma_f32 v1, v30, v98, -v1
	v_add_u32_e32 v22, 0x1c00, v139
	s_waitcnt vmcnt(6)
	v_mul_f32_e32 v2, v19, v101
	v_mul_f32_e32 v3, v18, v101
	v_fmac_f32_e32 v2, v18, v100
	v_fma_f32 v3, v19, v100, -v3
	ds_write2_b64 v22, v[0:1], v[2:3] offset0:124 offset1:209
	s_waitcnt vmcnt(4)
	v_mul_f32_e32 v0, v34, v97
	v_mul_f32_e32 v1, v33, v97
	s_waitcnt vmcnt(2)
	v_mul_f32_e32 v2, v36, v95
	v_mul_f32_e32 v3, v35, v95
	v_fmac_f32_e32 v0, v33, v96
	v_fma_f32 v1, v34, v96, -v1
	v_fmac_f32_e32 v2, v35, v94
	v_fma_f32 v3, v36, v94, -v3
	v_add_u32_e32 v23, 0x2000, v139
	ds_write2_b64 v23, v[0:1], v[2:3] offset0:166 offset1:251
	s_waitcnt vmcnt(0)
	v_mul_f32_e32 v0, v38, v93
	v_mul_f32_e32 v1, v37, v93
	v_fmac_f32_e32 v0, v37, v92
	v_fma_f32 v1, v38, v92, -v1
	ds_write_b64 v139, v[0:1] offset:10880
	s_waitcnt lgkmcnt(0)
	s_barrier
	ds_read2_b64 v[4:7], v139 offset1:85
	ds_read2_b64 v[8:11], v139 offset0:170 offset1:255
	ds_read2_b64 v[28:31], v20 offset0:84 offset1:169
	;; [unrolled: 1-line block ×6, first 2 shown]
	s_waitcnt lgkmcnt(6)
	v_add_f32_e32 v25, v5, v7
	v_add_f32_e32 v24, v4, v6
	s_waitcnt lgkmcnt(5)
	v_add_f32_e32 v25, v25, v9
	v_add_f32_e32 v24, v24, v8
	v_add_f32_e32 v25, v25, v11
	v_add_f32_e32 v24, v24, v10
	s_waitcnt lgkmcnt(4)
	v_add_f32_e32 v25, v25, v29
	v_add_f32_e32 v24, v24, v28
	;; [unrolled: 5-line block ×4, first 2 shown]
	v_add_f32_e32 v25, v25, v3
	ds_read2_b64 v[38:41], v23 offset0:166 offset1:251
	v_add_f32_e32 v24, v24, v2
	s_waitcnt lgkmcnt(2)
	v_add_f32_e32 v25, v25, v17
	ds_read_b64 v[42:43], v139 offset:10880
	v_add_f32_e32 v24, v24, v16
	v_add_f32_e32 v25, v25, v19
	v_add_f32_e32 v24, v24, v18
	s_waitcnt lgkmcnt(2)
	v_add_f32_e32 v25, v25, v33
	v_add_f32_e32 v24, v24, v32
	;; [unrolled: 1-line block ×4, first 2 shown]
	s_waitcnt lgkmcnt(1)
	v_add_f32_e32 v37, v37, v39
	v_add_f32_e32 v24, v35, v29
	v_sub_f32_e32 v27, v29, v35
	v_add_f32_e32 v29, v32, v30
	v_sub_f32_e32 v30, v30, v32
	;; [unrolled: 2-line block ×5, first 2 shown]
	v_add_f32_e32 v36, v36, v38
	v_add_f32_e32 v41, v37, v41
	s_waitcnt lgkmcnt(0)
	v_sub_f32_e32 v37, v7, v43
	v_add_f32_e32 v25, v34, v28
	v_sub_f32_e32 v26, v28, v34
	v_add_f32_e32 v28, v33, v31
	;; [unrolled: 2-line block ×7, first 2 shown]
	v_add_f32_e32 v36, v42, v6
	v_mul_f32_e32 v38, 0xbeb8f4ab, v37
	v_mul_f32_e32 v44, 0xbf2c7751, v37
	;; [unrolled: 1-line block ×3, first 2 shown]
	s_mov_b32 s6, 0x3dbcf732
	v_mul_f32_e32 v48, 0xbf7ee86f, v37
	s_mov_b32 s7, 0xbe8c1d8e
	v_mul_f32_e32 v50, 0xbf763a35, v37
	;; [unrolled: 2-line block ×4, first 2 shown]
	v_mul_f32_e32 v56, 0xbe3c28d5, v37
	s_mov_b32 s18, 0xbf7ba420
	v_sub_f32_e32 v6, v6, v42
	v_add_f32_e32 v8, v39, v11
	v_sub_f32_e32 v11, v11, v39
	v_fma_f32 v39, v36, s12, -v38
	v_fmac_f32_e32 v38, 0x3f6eb680, v36
	v_fma_f32 v45, v36, s3, -v44
	v_fmac_f32_e32 v44, 0x3f3d2fb0, v36
	;; [unrolled: 2-line block ×8, first 2 shown]
	v_mul_f32_e32 v36, 0xbeb8f4ab, v6
	v_mul_f32_e32 v58, 0xbf2c7751, v6
	;; [unrolled: 1-line block ×8, first 2 shown]
	v_add_f32_e32 v7, v43, v7
	v_mov_b32_e32 v57, v36
	v_mov_b32_e32 v59, v58
	;; [unrolled: 1-line block ×8, first 2 shown]
	v_fmac_f32_e32 v57, 0x3f6eb680, v7
	v_fma_f32 v36, v7, s12, -v36
	v_fmac_f32_e32 v59, 0x3f3d2fb0, v7
	v_fma_f32 v58, v7, s3, -v58
	;; [unrolled: 2-line block ×8, first 2 shown]
	v_add_f32_e32 v71, v4, v39
	v_add_f32_e32 v57, v5, v57
	v_add_f32_e32 v73, v4, v38
	v_add_f32_e32 v74, v5, v36
	v_add_f32_e32 v75, v4, v45
	v_add_f32_e32 v59, v5, v59
	v_add_f32_e32 v76, v4, v44
	v_add_f32_e32 v58, v5, v58
	v_add_f32_e32 v77, v4, v47
	v_add_f32_e32 v78, v5, v61
	v_add_f32_e32 v79, v4, v46
	v_add_f32_e32 v80, v5, v60
	v_add_f32_e32 v81, v4, v49
	v_add_f32_e32 v82, v5, v63
	v_add_f32_e32 v83, v4, v48
	v_add_f32_e32 v84, v5, v62
	v_add_f32_e32 v85, v4, v51
	v_add_f32_e32 v65, v5, v65
	v_add_f32_e32 v86, v4, v50
	v_add_f32_e32 v64, v5, v64
	v_add_f32_e32 v87, v4, v53
	v_add_f32_e32 v67, v5, v67
	v_add_f32_e32 v47, v4, v52
	v_add_f32_e32 v46, v5, v66
	v_add_f32_e32 v45, v4, v55
	v_add_f32_e32 v44, v5, v69
	v_add_f32_e32 v39, v4, v54
	v_add_f32_e32 v38, v5, v68
	v_add_f32_e32 v37, v4, v37
	v_add_f32_e32 v36, v5, v70
	v_add_f32_e32 v7, v4, v56
	v_add_f32_e32 v6, v5, v6
	v_add_f32_e32 v4, v40, v42
	v_add_f32_e32 v5, v41, v43
	v_add_f32_e32 v41, v2, v0
	v_sub_f32_e32 v42, v0, v2
	v_mul_f32_e32 v2, 0xbf2c7751, v35
	v_fma_f32 v0, v15, s3, -v2
	v_mul_f32_e32 v48, 0xbf65296c, v11
	v_add_f32_e32 v40, v3, v1
	v_sub_f32_e32 v43, v1, v3
	v_add_f32_e32 v0, v0, v71
	v_mul_f32_e32 v3, 0xbf2c7751, v34
	v_fma_f32 v49, v9, s2, -v48
	v_mov_b32_e32 v1, v3
	v_add_f32_e32 v0, v49, v0
	v_mul_f32_e32 v49, 0xbf65296c, v10
	v_fmac_f32_e32 v1, 0x3f3d2fb0, v14
	v_mov_b32_e32 v50, v49
	v_add_f32_e32 v1, v1, v57
	v_fmac_f32_e32 v50, 0x3ee437d1, v8
	v_add_f32_e32 v1, v50, v1
	v_mul_f32_e32 v50, 0xbf7ee86f, v27
	v_fma_f32 v51, v25, s6, -v50
	v_add_f32_e32 v0, v51, v0
	v_mul_f32_e32 v51, 0xbf7ee86f, v26
	v_mov_b32_e32 v52, v51
	v_fmac_f32_e32 v52, 0x3dbcf732, v24
	v_add_f32_e32 v1, v52, v1
	v_mul_f32_e32 v52, 0xbf763a35, v31
	v_fma_f32 v53, v29, s7, -v52
	v_add_f32_e32 v0, v53, v0
	v_mul_f32_e32 v53, 0xbf763a35, v30
	v_mov_b32_e32 v54, v53
	;; [unrolled: 7-line block ×4, first 2 shown]
	v_fmac_f32_e32 v2, 0x3f3d2fb0, v15
	v_fmac_f32_e32 v60, 0xbf59a7d5, v18
	v_add_f32_e32 v2, v2, v73
	v_fma_f32 v3, v14, s3, -v3
	v_fmac_f32_e32 v48, 0x3ee437d1, v9
	v_add_f32_e32 v1, v60, v1
	v_mul_f32_e32 v60, 0xbe3c28d5, v43
	v_add_f32_e32 v3, v3, v74
	v_add_f32_e32 v2, v48, v2
	v_fma_f32 v48, v8, s2, -v49
	v_fmac_f32_e32 v50, 0x3dbcf732, v25
	v_fma_f32 v61, v41, s18, -v60
	v_add_f32_e32 v3, v48, v3
	v_add_f32_e32 v2, v50, v2
	v_fma_f32 v48, v24, s6, -v51
	v_fmac_f32_e32 v52, 0xbe8c1d8e, v29
	v_add_f32_e32 v0, v61, v0
	v_mul_f32_e32 v61, 0xbe3c28d5, v42
	v_add_f32_e32 v3, v48, v3
	v_add_f32_e32 v2, v52, v2
	v_fma_f32 v48, v28, s7, -v53
	v_fmac_f32_e32 v54, 0xbf1a4643, v33
	v_mov_b32_e32 v62, v61
	v_add_f32_e32 v3, v48, v3
	v_add_f32_e32 v2, v54, v2
	v_fma_f32 v48, v32, s16, -v55
	v_fmac_f32_e32 v56, 0xbf59a7d5, v19
	v_fmac_f32_e32 v62, 0xbf7ba420, v40
	v_add_f32_e32 v3, v48, v3
	v_add_f32_e32 v2, v56, v2
	v_fma_f32 v48, v18, s17, -v57
	v_fmac_f32_e32 v60, 0xbf7ba420, v41
	v_add_f32_e32 v1, v62, v1
	v_add_f32_e32 v3, v48, v3
	;; [unrolled: 1-line block ×3, first 2 shown]
	v_fma_f32 v2, v40, s18, -v61
	v_mul_f32_e32 v48, 0xbf7ee86f, v35
	v_add_f32_e32 v63, v2, v3
	v_fma_f32 v2, v15, s6, -v48
	v_mul_f32_e32 v50, 0xbf4c4adb, v11
	v_add_f32_e32 v2, v2, v75
	v_mul_f32_e32 v49, 0xbf7ee86f, v34
	v_fma_f32 v51, v9, s16, -v50
	v_mov_b32_e32 v3, v49
	v_add_f32_e32 v2, v51, v2
	v_mul_f32_e32 v51, 0xbf4c4adb, v10
	v_fmac_f32_e32 v3, 0x3dbcf732, v14
	v_mov_b32_e32 v52, v51
	v_add_f32_e32 v3, v3, v59
	v_fmac_f32_e32 v52, 0xbf1a4643, v8
	v_add_f32_e32 v3, v52, v3
	v_mul_f32_e32 v52, 0xbe3c28d5, v27
	v_fma_f32 v53, v25, s18, -v52
	v_add_f32_e32 v2, v53, v2
	v_mul_f32_e32 v53, 0xbe3c28d5, v26
	v_mov_b32_e32 v54, v53
	v_fmac_f32_e32 v54, 0xbf7ba420, v24
	v_add_f32_e32 v3, v54, v3
	v_mul_f32_e32 v54, 0x3f06c442, v31
	v_fma_f32 v55, v29, s17, -v54
	v_add_f32_e32 v2, v55, v2
	v_mul_f32_e32 v55, 0x3f06c442, v30
	v_mov_b32_e32 v56, v55
	;; [unrolled: 7-line block ×3, first 2 shown]
	v_fmac_f32_e32 v59, 0xbe8c1d8e, v32
	v_add_f32_e32 v3, v59, v3
	v_mul_f32_e32 v59, 0x3f65296c, v17
	v_fma_f32 v60, v19, s2, -v59
	v_fmac_f32_e32 v48, 0x3dbcf732, v15
	v_add_f32_e32 v2, v60, v2
	v_mul_f32_e32 v60, 0x3f65296c, v16
	v_add_f32_e32 v48, v48, v76
	v_fma_f32 v49, v14, s6, -v49
	v_fmac_f32_e32 v50, 0xbf1a4643, v9
	v_mov_b32_e32 v61, v60
	v_add_f32_e32 v49, v49, v58
	v_add_f32_e32 v48, v50, v48
	v_fma_f32 v50, v8, s16, -v51
	v_fmac_f32_e32 v52, 0xbf7ba420, v25
	v_fmac_f32_e32 v61, 0x3ee437d1, v18
	v_add_f32_e32 v49, v50, v49
	v_add_f32_e32 v48, v52, v48
	v_fma_f32 v50, v24, s18, -v53
	v_fmac_f32_e32 v54, 0xbf59a7d5, v29
	v_add_f32_e32 v3, v61, v3
	v_mul_f32_e32 v61, 0x3eb8f4ab, v43
	v_add_f32_e32 v49, v50, v49
	v_add_f32_e32 v48, v54, v48
	v_fma_f32 v50, v28, s17, -v55
	v_fmac_f32_e32 v56, 0xbe8c1d8e, v33
	v_fma_f32 v66, v41, s12, -v61
	v_add_f32_e32 v49, v50, v49
	v_add_f32_e32 v48, v56, v48
	v_fma_f32 v50, v32, s7, -v57
	v_fmac_f32_e32 v59, 0x3ee437d1, v19
	v_add_f32_e32 v2, v66, v2
	v_mul_f32_e32 v66, 0x3eb8f4ab, v42
	v_add_f32_e32 v49, v50, v49
	v_add_f32_e32 v48, v59, v48
	v_fma_f32 v50, v18, s2, -v60
	v_fmac_f32_e32 v61, 0x3f6eb680, v41
	v_add_f32_e32 v49, v50, v49
	v_add_f32_e32 v60, v61, v48
	v_fma_f32 v48, v40, s12, -v66
	v_mul_f32_e32 v50, 0xbf4c4adb, v35
	v_add_f32_e32 v61, v48, v49
	v_fma_f32 v48, v15, s16, -v50
	v_mul_f32_e32 v52, 0x3e3c28d5, v11
	v_add_f32_e32 v48, v48, v77
	v_mul_f32_e32 v51, 0xbf4c4adb, v34
	v_fma_f32 v53, v9, s18, -v52
	v_mov_b32_e32 v49, v51
	v_add_f32_e32 v48, v53, v48
	v_mul_f32_e32 v53, 0x3e3c28d5, v10
	v_fmac_f32_e32 v49, 0xbf1a4643, v14
	v_mov_b32_e32 v54, v53
	v_add_f32_e32 v49, v49, v78
	v_fmac_f32_e32 v54, 0xbf7ba420, v8
	v_add_f32_e32 v49, v54, v49
	v_mul_f32_e32 v54, 0x3f763a35, v27
	v_fma_f32 v55, v25, s7, -v54
	v_add_f32_e32 v48, v55, v48
	v_mul_f32_e32 v55, 0x3f763a35, v26
	v_mov_b32_e32 v56, v55
	v_fmac_f32_e32 v56, 0xbe8c1d8e, v24
	v_add_f32_e32 v49, v56, v49
	v_mul_f32_e32 v56, 0x3f2c7751, v31
	v_fma_f32 v57, v29, s3, -v56
	v_add_f32_e32 v48, v57, v48
	v_mul_f32_e32 v57, 0x3f2c7751, v30
	v_mov_b32_e32 v58, v57
	;; [unrolled: 7-line block ×3, first 2 shown]
	v_mov_b32_e32 v66, v59
	v_fmac_f32_e32 v66, 0x3f6eb680, v32
	v_fmac_f32_e32 v68, 0x3f6eb680, v40
	v_add_f32_e32 v49, v66, v49
	v_mul_f32_e32 v66, 0xbf7ee86f, v17
	v_add_f32_e32 v3, v68, v3
	v_fma_f32 v68, v19, s6, -v66
	v_fmac_f32_e32 v50, 0xbf1a4643, v15
	v_add_f32_e32 v48, v68, v48
	v_mul_f32_e32 v68, 0xbf7ee86f, v16
	v_add_f32_e32 v50, v50, v79
	v_fma_f32 v51, v14, s16, -v51
	v_fmac_f32_e32 v52, 0xbf7ba420, v9
	v_mov_b32_e32 v69, v68
	v_add_f32_e32 v51, v51, v80
	v_add_f32_e32 v50, v52, v50
	v_fma_f32 v52, v8, s18, -v53
	v_fmac_f32_e32 v69, 0x3dbcf732, v18
	v_add_f32_e32 v51, v52, v51
	v_fma_f32 v52, v24, s7, -v55
	v_add_f32_e32 v49, v69, v49
	v_mul_f32_e32 v69, 0xbf06c442, v43
	v_add_f32_e32 v51, v52, v51
	v_fma_f32 v52, v28, s3, -v57
	v_fma_f32 v70, v41, s17, -v69
	v_add_f32_e32 v51, v52, v51
	v_fma_f32 v52, v32, s12, -v59
	v_add_f32_e32 v48, v70, v48
	v_mul_f32_e32 v70, 0xbf06c442, v42
	v_fmac_f32_e32 v54, 0xbe8c1d8e, v25
	v_add_f32_e32 v51, v52, v51
	v_fma_f32 v52, v18, s6, -v68
	v_add_f32_e32 v50, v54, v50
	v_fmac_f32_e32 v56, 0x3f3d2fb0, v29
	v_add_f32_e32 v51, v52, v51
	v_fma_f32 v52, v40, s17, -v70
	v_mul_f32_e32 v54, 0xbe3c28d5, v35
	v_add_f32_e32 v50, v56, v50
	v_add_f32_e32 v51, v52, v51
	v_fma_f32 v52, v15, s18, -v54
	v_mul_f32_e32 v56, 0x3f763a35, v11
	v_add_f32_e32 v52, v52, v81
	v_mul_f32_e32 v55, 0xbe3c28d5, v34
	v_fma_f32 v57, v9, s7, -v56
	v_fmac_f32_e32 v58, 0x3f6eb680, v33
	v_mov_b32_e32 v53, v55
	v_add_f32_e32 v52, v57, v52
	v_mul_f32_e32 v57, 0x3f763a35, v10
	v_add_f32_e32 v50, v58, v50
	v_fmac_f32_e32 v53, 0xbf7ba420, v14
	v_mov_b32_e32 v58, v57
	v_add_f32_e32 v53, v53, v82
	v_fmac_f32_e32 v58, 0xbe8c1d8e, v8
	v_add_f32_e32 v53, v58, v53
	v_mul_f32_e32 v58, 0x3eb8f4ab, v27
	v_fma_f32 v59, v25, s12, -v58
	v_fmac_f32_e32 v66, 0x3dbcf732, v19
	v_add_f32_e32 v52, v59, v52
	v_mul_f32_e32 v59, 0x3eb8f4ab, v26
	v_add_f32_e32 v50, v66, v50
	v_mov_b32_e32 v66, v59
	v_fmac_f32_e32 v66, 0x3f6eb680, v24
	v_add_f32_e32 v53, v66, v53
	v_mul_f32_e32 v66, 0xbf65296c, v31
	v_fma_f32 v68, v29, s2, -v66
	v_fmac_f32_e32 v69, 0xbf59a7d5, v41
	v_add_f32_e32 v52, v68, v52
	v_mul_f32_e32 v68, 0xbf65296c, v30
	v_add_f32_e32 v50, v69, v50
	v_mov_b32_e32 v69, v68
	v_fmac_f32_e32 v69, 0x3ee437d1, v28
	v_add_f32_e32 v53, v69, v53
	v_mul_f32_e32 v69, 0xbf06c442, v13
	v_mov_b32_e32 v71, v70
	v_fma_f32 v70, v33, s17, -v69
	v_fmac_f32_e32 v71, 0xbf59a7d5, v40
	v_add_f32_e32 v52, v70, v52
	v_mul_f32_e32 v70, 0xbf06c442, v12
	v_add_f32_e32 v49, v71, v49
	v_mov_b32_e32 v71, v70
	v_fmac_f32_e32 v71, 0xbf59a7d5, v32
	v_add_f32_e32 v53, v71, v53
	v_mul_f32_e32 v71, 0x3f4c4adb, v17
	v_fma_f32 v73, v19, s16, -v71
	v_fmac_f32_e32 v54, 0xbf7ba420, v15
	v_add_f32_e32 v52, v73, v52
	v_mul_f32_e32 v73, 0x3f4c4adb, v16
	v_add_f32_e32 v54, v54, v83
	v_fma_f32 v55, v14, s18, -v55
	v_fmac_f32_e32 v56, 0xbe8c1d8e, v9
	v_mov_b32_e32 v74, v73
	v_add_f32_e32 v55, v55, v84
	v_add_f32_e32 v54, v56, v54
	v_fma_f32 v56, v8, s7, -v57
	v_fmac_f32_e32 v74, 0xbf1a4643, v18
	v_add_f32_e32 v55, v56, v55
	v_fma_f32 v56, v24, s12, -v59
	v_add_f32_e32 v53, v74, v53
	v_mul_f32_e32 v74, 0x3f2c7751, v43
	v_add_f32_e32 v55, v56, v55
	v_fma_f32 v56, v28, s2, -v68
	v_fma_f32 v75, v41, s3, -v74
	v_add_f32_e32 v55, v56, v55
	v_fma_f32 v56, v32, s17, -v70
	v_mul_f32_e32 v59, 0x3f06c442, v34
	v_add_f32_e32 v52, v75, v52
	v_mul_f32_e32 v75, 0x3f2c7751, v42
	v_fmac_f32_e32 v58, 0x3f6eb680, v25
	v_add_f32_e32 v55, v56, v55
	v_fma_f32 v56, v18, s16, -v73
	v_mov_b32_e32 v57, v59
	v_add_f32_e32 v54, v58, v54
	v_add_f32_e32 v55, v56, v55
	v_fma_f32 v56, v40, s3, -v75
	v_mul_f32_e32 v58, 0x3f06c442, v35
	v_fmac_f32_e32 v57, 0xbf59a7d5, v14
	v_fmac_f32_e32 v66, 0x3ee437d1, v29
	v_add_f32_e32 v55, v56, v55
	v_fma_f32 v56, v15, s17, -v58
	v_add_f32_e32 v57, v57, v65
	v_mul_f32_e32 v65, 0x3f2c7751, v11
	v_add_f32_e32 v54, v66, v54
	v_add_f32_e32 v56, v56, v85
	v_fma_f32 v66, v9, s3, -v65
	v_add_f32_e32 v56, v66, v56
	v_mul_f32_e32 v66, 0x3f2c7751, v10
	v_mov_b32_e32 v68, v66
	v_fmac_f32_e32 v68, 0x3f3d2fb0, v8
	v_fmac_f32_e32 v69, 0xbf59a7d5, v33
	v_add_f32_e32 v57, v68, v57
	v_mul_f32_e32 v68, 0xbf65296c, v27
	v_add_f32_e32 v54, v69, v54
	v_fma_f32 v69, v25, s2, -v68
	v_add_f32_e32 v56, v69, v56
	v_mul_f32_e32 v69, 0xbf65296c, v26
	v_mov_b32_e32 v70, v69
	v_fmac_f32_e32 v70, 0x3ee437d1, v24
	v_fmac_f32_e32 v71, 0xbf1a4643, v19
	v_add_f32_e32 v57, v70, v57
	v_mul_f32_e32 v70, 0xbe3c28d5, v31
	;; [unrolled: 9-line block ×3, first 2 shown]
	v_add_f32_e32 v54, v74, v54
	v_fma_f32 v74, v33, s6, -v73
	v_add_f32_e32 v56, v74, v56
	v_mul_f32_e32 v74, 0x3f7ee86f, v12
	v_mov_b32_e32 v76, v75
	v_mov_b32_e32 v75, v74
	v_fmac_f32_e32 v75, 0x3dbcf732, v32
	v_fmac_f32_e32 v76, 0x3f3d2fb0, v40
	v_add_f32_e32 v57, v75, v57
	v_mul_f32_e32 v75, 0xbeb8f4ab, v17
	v_add_f32_e32 v53, v76, v53
	v_fma_f32 v76, v19, s12, -v75
	v_add_f32_e32 v56, v76, v56
	v_mul_f32_e32 v76, 0xbeb8f4ab, v16
	v_fma_f32 v59, v14, s17, -v59
	v_mov_b32_e32 v77, v76
	v_fmac_f32_e32 v58, 0xbf59a7d5, v15
	v_add_f32_e32 v59, v59, v64
	v_fma_f32 v64, v8, s3, -v66
	v_fmac_f32_e32 v77, 0x3f6eb680, v18
	v_add_f32_e32 v58, v58, v86
	v_fmac_f32_e32 v65, 0x3f3d2fb0, v9
	v_add_f32_e32 v59, v64, v59
	v_fma_f32 v64, v24, s2, -v69
	v_add_f32_e32 v57, v77, v57
	v_mul_f32_e32 v77, 0xbf4c4adb, v43
	v_add_f32_e32 v58, v65, v58
	v_fmac_f32_e32 v68, 0x3ee437d1, v25
	v_add_f32_e32 v59, v64, v59
	v_fma_f32 v64, v28, s18, -v71
	v_fma_f32 v78, v41, s16, -v77
	v_add_f32_e32 v58, v68, v58
	v_add_f32_e32 v59, v64, v59
	v_fma_f32 v64, v32, s6, -v74
	v_mul_f32_e32 v68, 0x3f763a35, v34
	v_add_f32_e32 v56, v78, v56
	v_mul_f32_e32 v78, 0xbf4c4adb, v42
	v_add_f32_e32 v59, v64, v59
	v_fma_f32 v64, v18, s12, -v76
	v_mov_b32_e32 v65, v68
	v_add_f32_e32 v59, v64, v59
	v_fma_f32 v64, v40, s16, -v78
	v_mul_f32_e32 v66, 0x3f763a35, v35
	v_fmac_f32_e32 v65, 0xbe8c1d8e, v14
	v_add_f32_e32 v59, v64, v59
	v_fma_f32 v64, v15, s7, -v66
	v_add_f32_e32 v65, v65, v67
	v_mul_f32_e32 v67, 0xbeb8f4ab, v11
	v_add_f32_e32 v64, v64, v87
	v_fma_f32 v69, v9, s12, -v67
	v_fmac_f32_e32 v70, 0xbf7ba420, v29
	v_add_f32_e32 v64, v69, v64
	v_mul_f32_e32 v69, 0xbeb8f4ab, v10
	v_add_f32_e32 v58, v70, v58
	v_mov_b32_e32 v70, v69
	v_fmac_f32_e32 v70, 0x3f6eb680, v8
	v_add_f32_e32 v65, v70, v65
	v_mul_f32_e32 v70, 0xbf06c442, v27
	v_fma_f32 v71, v25, s17, -v70
	v_fmac_f32_e32 v73, 0x3dbcf732, v33
	v_add_f32_e32 v64, v71, v64
	v_mul_f32_e32 v71, 0xbf06c442, v26
	v_add_f32_e32 v58, v73, v58
	v_mov_b32_e32 v73, v71
	v_fmac_f32_e32 v73, 0xbf59a7d5, v24
	v_add_f32_e32 v65, v73, v65
	v_mul_f32_e32 v73, 0x3f7ee86f, v31
	;; [unrolled: 9-line block ×4, first 2 shown]
	v_mov_b32_e32 v79, v78
	v_fma_f32 v78, v19, s18, -v77
	v_fmac_f32_e32 v66, 0xbe8c1d8e, v15
	v_fmac_f32_e32 v79, 0xbf1a4643, v40
	v_add_f32_e32 v64, v78, v64
	v_mul_f32_e32 v78, 0xbe3c28d5, v16
	v_add_f32_e32 v47, v66, v47
	v_fma_f32 v66, v14, s7, -v68
	v_fmac_f32_e32 v67, 0x3f6eb680, v9
	v_add_f32_e32 v57, v79, v57
	v_mov_b32_e32 v79, v78
	v_add_f32_e32 v46, v66, v46
	v_add_f32_e32 v47, v67, v47
	v_fma_f32 v66, v8, s12, -v69
	v_fmac_f32_e32 v70, 0xbf59a7d5, v25
	v_fmac_f32_e32 v79, 0xbf7ba420, v18
	v_add_f32_e32 v46, v66, v46
	v_add_f32_e32 v47, v70, v47
	v_fma_f32 v66, v24, s17, -v71
	v_fmac_f32_e32 v73, 0x3dbcf732, v29
	v_add_f32_e32 v65, v79, v65
	v_mul_f32_e32 v79, 0x3f65296c, v43
	v_add_f32_e32 v46, v66, v46
	v_add_f32_e32 v47, v73, v47
	v_fma_f32 v66, v28, s6, -v74
	v_fmac_f32_e32 v75, 0x3f3d2fb0, v33
	v_fma_f32 v80, v41, s2, -v79
	v_add_f32_e32 v46, v66, v46
	v_add_f32_e32 v47, v75, v47
	v_fma_f32 v66, v32, s3, -v76
	v_fmac_f32_e32 v77, 0xbf7ba420, v19
	v_add_f32_e32 v64, v80, v64
	v_mul_f32_e32 v80, 0x3f65296c, v42
	v_add_f32_e32 v46, v66, v46
	v_add_f32_e32 v47, v77, v47
	v_fma_f32 v66, v18, s18, -v78
	v_fmac_f32_e32 v79, 0x3ee437d1, v41
	v_add_f32_e32 v66, v66, v46
	v_add_f32_e32 v46, v79, v47
	v_fma_f32 v47, v40, s2, -v80
	v_add_f32_e32 v47, v47, v66
	v_mul_f32_e32 v66, 0x3f65296c, v35
	v_fma_f32 v67, v15, s2, -v66
	v_add_f32_e32 v45, v67, v45
	v_mul_f32_e32 v67, 0x3f65296c, v34
	v_mov_b32_e32 v68, v67
	v_fmac_f32_e32 v68, 0x3ee437d1, v14
	v_add_f32_e32 v44, v68, v44
	v_mul_f32_e32 v68, 0xbf7ee86f, v11
	v_fma_f32 v69, v9, s6, -v68
	v_add_f32_e32 v45, v69, v45
	v_mul_f32_e32 v69, 0xbf7ee86f, v10
	v_mov_b32_e32 v70, v69
	v_fmac_f32_e32 v70, 0x3dbcf732, v8
	;; [unrolled: 7-line block ×5, first 2 shown]
	v_fmac_f32_e32 v66, 0x3ee437d1, v15
	v_add_f32_e32 v44, v77, v44
	v_mul_f32_e32 v77, 0x3f2c7751, v17
	v_add_f32_e32 v39, v66, v39
	v_fma_f32 v66, v14, s2, -v67
	v_fmac_f32_e32 v68, 0x3dbcf732, v9
	v_fma_f32 v78, v19, s3, -v77
	v_add_f32_e32 v38, v66, v38
	v_add_f32_e32 v39, v68, v39
	v_fma_f32 v66, v8, s6, -v69
	v_fmac_f32_e32 v70, 0xbf1a4643, v25
	v_add_f32_e32 v45, v78, v45
	v_mul_f32_e32 v78, 0x3f2c7751, v16
	v_add_f32_e32 v38, v66, v38
	v_add_f32_e32 v39, v70, v39
	v_fma_f32 v66, v24, s16, -v71
	v_fmac_f32_e32 v73, 0x3f6eb680, v29
	v_mov_b32_e32 v81, v80
	v_mov_b32_e32 v79, v78
	v_add_f32_e32 v38, v66, v38
	v_add_f32_e32 v39, v73, v39
	v_fma_f32 v66, v28, s12, -v74
	v_fmac_f32_e32 v75, 0xbf7ba420, v33
	v_fmac_f32_e32 v81, 0x3ee437d1, v40
	;; [unrolled: 1-line block ×3, first 2 shown]
	v_mul_f32_e32 v80, 0xbf763a35, v43
	v_add_f32_e32 v38, v66, v38
	v_add_f32_e32 v39, v75, v39
	v_fma_f32 v66, v32, s18, -v76
	v_fmac_f32_e32 v77, 0x3f3d2fb0, v19
	v_add_f32_e32 v65, v81, v65
	v_add_f32_e32 v79, v79, v44
	v_fma_f32 v44, v41, s7, -v80
	v_mul_f32_e32 v81, 0xbf763a35, v42
	v_add_f32_e32 v38, v66, v38
	v_add_f32_e32 v39, v77, v39
	v_fma_f32 v66, v18, s3, -v78
	v_fmac_f32_e32 v80, 0xbe8c1d8e, v41
	v_add_f32_e32 v66, v66, v38
	v_add_f32_e32 v38, v80, v39
	v_fma_f32 v39, v40, s7, -v81
	v_mul_f32_e32 v35, 0x3eb8f4ab, v35
	v_add_f32_e32 v39, v39, v66
	v_fma_f32 v66, v15, s12, -v35
	v_mul_f32_e32 v34, 0x3eb8f4ab, v34
	v_add_f32_e32 v37, v66, v37
	v_mov_b32_e32 v66, v34
	v_fmac_f32_e32 v66, 0x3f6eb680, v14
	v_add_f32_e32 v36, v66, v36
	v_mul_f32_e32 v66, 0xbf06c442, v11
	v_fma_f32 v11, v9, s17, -v66
	v_add_f32_e32 v11, v11, v37
	v_mul_f32_e32 v37, 0xbf06c442, v10
	v_mov_b32_e32 v10, v37
	v_fmac_f32_e32 v10, 0xbf59a7d5, v8
	v_mul_f32_e32 v27, 0x3f2c7751, v27
	v_add_f32_e32 v10, v10, v36
	v_fma_f32 v36, v25, s3, -v27
	v_mul_f32_e32 v26, 0x3f2c7751, v26
	v_add_f32_e32 v11, v36, v11
	v_mov_b32_e32 v36, v26
	v_fmac_f32_e32 v36, 0x3f3d2fb0, v24
	v_mul_f32_e32 v31, 0xbf4c4adb, v31
	v_add_f32_e32 v10, v36, v10
	v_fma_f32 v36, v29, s16, -v31
	v_mul_f32_e32 v30, 0xbf4c4adb, v30
	v_add_f32_e32 v11, v36, v11
	v_mov_b32_e32 v36, v30
	v_fmac_f32_e32 v36, 0xbf1a4643, v28
	v_mul_f32_e32 v13, 0x3f65296c, v13
	v_add_f32_e32 v10, v36, v10
	v_fma_f32 v36, v33, s2, -v13
	v_mul_f32_e32 v12, 0x3f65296c, v12
	v_fmac_f32_e32 v35, 0x3f6eb680, v15
	v_add_f32_e32 v11, v36, v11
	v_mov_b32_e32 v36, v12
	v_add_f32_e32 v7, v35, v7
	v_fma_f32 v14, v14, s12, -v34
	v_fmac_f32_e32 v66, 0xbf59a7d5, v9
	v_fmac_f32_e32 v36, 0x3ee437d1, v32
	v_mul_f32_e32 v17, 0xbf763a35, v17
	v_add_f32_e32 v6, v14, v6
	v_add_f32_e32 v7, v66, v7
	v_fma_f32 v8, v8, s17, -v37
	v_fmac_f32_e32 v27, 0x3f3d2fb0, v25
	v_add_f32_e32 v10, v36, v10
	v_fma_f32 v36, v19, s7, -v17
	v_mul_f32_e32 v16, 0xbf763a35, v16
	v_add_f32_e32 v6, v8, v6
	v_add_f32_e32 v7, v27, v7
	v_fma_f32 v8, v24, s3, -v26
	v_fmac_f32_e32 v31, 0xbf1a4643, v29
	v_add_f32_e32 v11, v36, v11
	v_mov_b32_e32 v36, v16
	v_add_f32_e32 v6, v8, v6
	v_add_f32_e32 v7, v31, v7
	v_fma_f32 v8, v28, s16, -v30
	v_fmac_f32_e32 v13, 0x3ee437d1, v33
	v_fmac_f32_e32 v36, 0xbe8c1d8e, v18
	v_mul_f32_e32 v43, 0x3f7ee86f, v43
	v_add_f32_e32 v6, v8, v6
	v_add_f32_e32 v7, v13, v7
	v_fma_f32 v8, v32, s2, -v12
	v_fmac_f32_e32 v17, 0xbe8c1d8e, v19
	v_add_f32_e32 v36, v36, v10
	v_fma_f32 v10, v41, s6, -v43
	v_mul_f32_e32 v42, 0x3f7ee86f, v42
	v_add_f32_e32 v6, v8, v6
	v_add_f32_e32 v7, v17, v7
	v_fma_f32 v8, v18, s7, -v16
	v_fmac_f32_e32 v43, 0x3dbcf732, v41
	v_add_f32_e32 v8, v8, v6
	v_add_f32_e32 v6, v43, v7
	v_fma_f32 v7, v40, s6, -v42
	v_add_f32_e32 v44, v44, v45
	v_mov_b32_e32 v45, v81
	v_add_f32_e32 v10, v10, v11
	v_mov_b32_e32 v11, v42
	v_add_f32_e32 v7, v7, v8
	v_mul_lo_u16_e32 v8, 17, v140
	v_fmac_f32_e32 v45, 0xbe8c1d8e, v40
	v_fmac_f32_e32 v11, 0x3dbcf732, v40
	v_lshlrev_b32_e32 v78, 3, v8
	v_add_f32_e32 v45, v45, v79
	v_add_f32_e32 v11, v11, v36
	s_barrier
	ds_write2_b64 v78, v[4:5], v[0:1] offset1:1
	ds_write2_b64 v78, v[2:3], v[48:49] offset0:2 offset1:3
	ds_write2_b64 v78, v[52:53], v[56:57] offset0:4 offset1:5
	;; [unrolled: 1-line block ×7, first 2 shown]
	ds_write_b64 v78, v[62:63] offset:128
	v_add_u32_e32 v0, 0x400, v139
	s_waitcnt lgkmcnt(0)
	s_barrier
	ds_read2_b64 v[36:39], v139 offset1:85
	ds_read2_b64 v[32:35], v0 offset0:42 offset1:161
	ds_read2_b64 v[44:47], v21 offset0:66 offset1:151
	v_add_u32_e32 v0, 0x1400, v139
	ds_read2_b64 v[40:43], v0 offset0:108 offset1:227
	ds_read2_b64 v[52:55], v23 offset0:132 offset1:217
	;; [unrolled: 1-line block ×4, first 2 shown]
	ds_read_b64 v[64:65], v139 offset:10608
	s_load_dwordx2 s[2:3], s[4:5], 0x38
	v_cmp_gt_u16_e32 vcc, 34, v140
                                        ; implicit-def: $vgpr66
                                        ; implicit-def: $vgpr68
                                        ; implicit-def: $vgpr70
	s_and_saveexec_b64 s[4:5], vcc
	s_cbranch_execz .LBB0_3
; %bb.2:
	ds_read_b64 v[60:61], v139 offset:2040
	ds_read_b64 v[62:63], v139 offset:4352
	ds_read_b64 v[66:67], v139 offset:6664
	ds_read_b64 v[68:69], v139 offset:8976
	ds_read_b64 v[70:71], v139 offset:11288
.LBB0_3:
	s_or_b64 exec, exec, s[4:5]
	s_movk_i32 s4, 0xf1
	v_mul_lo_u16_sdwa v0, v140, s4 dst_sel:DWORD dst_unused:UNUSED_PAD src0_sel:BYTE_0 src1_sel:DWORD
	v_lshrrev_b16_e32 v83, 12, v0
	v_mul_lo_u16_e32 v0, 17, v83
	v_sub_u16_e32 v0, v140, v0
	v_and_b32_e32 v84, 0xff, v0
	v_lshlrev_b32_e32 v0, 5, v84
	global_load_dwordx4 v[8:11], v0, s[14:15] offset:16
	global_load_dwordx4 v[16:19], v0, s[14:15]
	v_add_u16_e32 v0, 0x55, v140
	v_mul_lo_u16_sdwa v1, v0, s4 dst_sel:DWORD dst_unused:UNUSED_PAD src0_sel:BYTE_0 src1_sel:DWORD
	v_lshrrev_b16_e32 v85, 12, v1
	v_mul_lo_u16_e32 v1, 17, v85
	v_sub_u16_e32 v0, v0, v1
	v_and_b32_e32 v86, 0xff, v0
	v_lshlrev_b32_e32 v0, 5, v86
	global_load_dwordx4 v[12:15], v0, s[14:15] offset:16
	global_load_dwordx4 v[24:27], v0, s[14:15]
	v_add_u16_e32 v0, 0xaa, v140
	;; [unrolled: 9-line block ×3, first 2 shown]
	v_mul_u32_u24_e32 v1, 0xf0f1, v0
	v_lshrrev_b32_e32 v141, 20, v1
	v_mul_lo_u16_e32 v1, 17, v141
	v_sub_u16_e32 v142, v0, v1
	v_lshlrev_b16_e32 v0, 2, v142
	v_lshlrev_b32_e32 v73, 3, v0
	global_load_dwordx4 v[4:7], v73, s[14:15]
	global_load_dwordx4 v[0:3], v73, s[14:15] offset:16
	s_waitcnt vmcnt(0) lgkmcnt(0)
	s_barrier
	v_mul_f32_e32 v79, v43, v9
	v_mul_f32_e32 v76, v45, v19
	;; [unrolled: 1-line block ×4, first 2 shown]
	v_fma_f32 v76, v44, v18, -v76
	v_fmac_f32_e32 v77, v45, v18
	v_fma_f32 v45, v42, v8, -v79
	v_mul_f32_e32 v75, v34, v17
	v_mul_f32_e32 v82, v52, v11
	v_fma_f32 v79, v52, v10, -v81
	v_add_f32_e32 v52, v76, v45
	v_mul_f32_e32 v74, v35, v17
	v_mul_f32_e32 v80, v42, v9
	;; [unrolled: 1-line block ×3, first 2 shown]
	v_fmac_f32_e32 v75, v35, v16
	v_fmac_f32_e32 v82, v53, v10
	v_fma_f32 v53, -0.5, v52, v36
	v_mul_f32_e32 v89, v57, v25
	v_mul_f32_e32 v90, v56, v25
	;; [unrolled: 1-line block ×5, first 2 shown]
	v_fma_f32 v74, v34, v16, -v74
	v_fmac_f32_e32 v80, v43, v8
	v_fmac_f32_e32 v131, v55, v14
	v_sub_f32_e32 v52, v75, v82
	v_mov_b32_e32 v55, v53
	v_mul_f32_e32 v91, v47, v27
	v_mul_f32_e32 v129, v48, v13
	v_fma_f32 v81, v56, v24, -v89
	v_fmac_f32_e32 v90, v57, v24
	v_fmac_f32_e32 v127, v47, v26
	v_fma_f32 v47, v48, v12, -v128
	v_fma_f32 v48, v54, v14, -v130
	v_fmac_f32_e32 v55, 0x3f737871, v52
	v_sub_f32_e32 v54, v77, v80
	v_sub_f32_e32 v56, v74, v76
	;; [unrolled: 1-line block ×3, first 2 shown]
	v_fmac_f32_e32 v53, 0xbf737871, v52
	v_fmac_f32_e32 v55, 0x3f167918, v54
	v_add_f32_e32 v56, v56, v57
	v_fmac_f32_e32 v53, 0xbf167918, v54
	v_fmac_f32_e32 v55, 0x3e9e377a, v56
	;; [unrolled: 1-line block ×3, first 2 shown]
	v_add_f32_e32 v56, v74, v79
	v_mul_f32_e32 v144, v63, v5
	v_fma_f32 v57, -0.5, v56, v36
	v_mul_f32_e32 v137, v50, v21
	v_mul_f32_e32 v73, v62, v5
	v_fma_f32 v34, v62, v4, -v144
	v_mov_b32_e32 v62, v57
	v_mul_f32_e32 v136, v51, v21
	v_fmac_f32_e32 v137, v51, v20
	v_add_f32_e32 v51, v36, v74
	v_fmac_f32_e32 v62, 0xbf737871, v54
	v_sub_f32_e32 v36, v76, v74
	v_sub_f32_e32 v56, v45, v79
	v_fmac_f32_e32 v57, 0x3f737871, v54
	v_fmac_f32_e32 v62, 0x3f167918, v52
	v_add_f32_e32 v36, v36, v56
	v_fmac_f32_e32 v57, 0xbf167918, v52
	v_fmac_f32_e32 v62, 0x3e9e377a, v36
	;; [unrolled: 1-line block ×3, first 2 shown]
	v_add_f32_e32 v36, v37, v75
	v_add_f32_e32 v36, v36, v77
	;; [unrolled: 1-line block ×5, first 2 shown]
	v_fma_f32 v54, -0.5, v36, v37
	v_mul_f32_e32 v132, v59, v29
	v_add_f32_e32 v51, v51, v76
	v_sub_f32_e32 v36, v74, v79
	v_mov_b32_e32 v56, v54
	v_mul_f32_e32 v133, v58, v29
	v_fmac_f32_e32 v129, v49, v12
	v_fma_f32 v49, v58, v28, -v132
	v_fmac_f32_e32 v73, v63, v4
	v_add_f32_e32 v51, v51, v45
	v_fmac_f32_e32 v56, 0xbf737871, v36
	v_sub_f32_e32 v45, v76, v45
	v_sub_f32_e32 v58, v75, v77
	;; [unrolled: 1-line block ×3, first 2 shown]
	v_fmac_f32_e32 v54, 0x3f737871, v36
	v_fmac_f32_e32 v56, 0xbf167918, v45
	v_add_f32_e32 v58, v58, v63
	v_fmac_f32_e32 v54, 0x3f167918, v45
	v_fmac_f32_e32 v56, 0x3e9e377a, v58
	;; [unrolled: 1-line block ×3, first 2 shown]
	v_add_f32_e32 v58, v75, v82
	v_fma_f32 v58, -0.5, v58, v37
	v_mov_b32_e32 v63, v58
	v_fmac_f32_e32 v63, 0x3f737871, v45
	v_fmac_f32_e32 v58, 0xbf737871, v45
	v_fma_f32 v46, v46, v26, -v91
	v_fmac_f32_e32 v63, 0xbf167918, v36
	v_fmac_f32_e32 v58, 0x3f167918, v36
	v_add_f32_e32 v36, v38, v81
	v_mul_f32_e32 v138, v65, v23
	v_add_f32_e32 v36, v36, v46
	v_mul_f32_e32 v143, v64, v23
	v_fma_f32 v89, v64, v22, -v138
	v_sub_f32_e32 v37, v77, v75
	v_sub_f32_e32 v64, v80, v82
	v_add_f32_e32 v36, v36, v47
	v_mul_f32_e32 v134, v41, v31
	v_mul_f32_e32 v135, v40, v31
	;; [unrolled: 1-line block ×3, first 2 shown]
	v_add_f32_e32 v37, v37, v64
	v_add_f32_e32 v64, v36, v48
	;; [unrolled: 1-line block ×3, first 2 shown]
	v_fmac_f32_e32 v133, v59, v28
	v_fma_f32 v59, v40, v30, -v134
	v_fmac_f32_e32 v135, v41, v30
	v_fma_f32 v35, v66, v6, -v145
	v_mul_f32_e32 v41, v66, v7
	v_mul_f32_e32 v40, v69, v1
	v_fma_f32 v66, -0.5, v36, v38
	v_fma_f32 v40, v68, v0, -v40
	v_mul_f32_e32 v43, v68, v1
	v_sub_f32_e32 v36, v90, v131
	v_mov_b32_e32 v68, v66
	v_fmac_f32_e32 v143, v65, v22
	v_fmac_f32_e32 v63, 0x3e9e377a, v37
	;; [unrolled: 1-line block ×4, first 2 shown]
	v_sub_f32_e32 v37, v127, v129
	v_sub_f32_e32 v45, v81, v46
	;; [unrolled: 1-line block ×3, first 2 shown]
	v_fmac_f32_e32 v66, 0xbf737871, v36
	v_fmac_f32_e32 v68, 0x3f167918, v37
	v_add_f32_e32 v45, v45, v65
	v_fmac_f32_e32 v66, 0xbf167918, v37
	v_fmac_f32_e32 v68, 0x3e9e377a, v45
	;; [unrolled: 1-line block ×3, first 2 shown]
	v_add_f32_e32 v45, v81, v48
	v_mul_f32_e32 v42, v71, v3
	v_fma_f32 v38, -0.5, v45, v38
	v_fma_f32 v42, v70, v2, -v42
	v_mul_f32_e32 v44, v70, v3
	v_mov_b32_e32 v70, v38
	v_fmac_f32_e32 v70, 0xbf737871, v37
	v_fmac_f32_e32 v38, 0x3f737871, v37
	;; [unrolled: 1-line block ×4, first 2 shown]
	v_add_f32_e32 v36, v39, v90
	v_add_f32_e32 v36, v36, v127
	v_sub_f32_e32 v45, v46, v81
	v_sub_f32_e32 v65, v47, v48
	v_add_f32_e32 v36, v36, v129
	v_add_f32_e32 v45, v45, v65
	v_add_f32_e32 v65, v36, v131
	v_add_f32_e32 v36, v127, v129
	v_fmac_f32_e32 v41, v67, v6
	v_fma_f32 v67, -0.5, v36, v39
	v_fmac_f32_e32 v43, v69, v0
	v_sub_f32_e32 v36, v81, v48
	v_mov_b32_e32 v69, v67
	v_fmac_f32_e32 v70, 0x3e9e377a, v45
	v_fmac_f32_e32 v38, 0x3e9e377a, v45
	v_fmac_f32_e32 v69, 0xbf737871, v36
	v_sub_f32_e32 v37, v46, v47
	v_sub_f32_e32 v45, v90, v127
	;; [unrolled: 1-line block ×3, first 2 shown]
	v_fmac_f32_e32 v67, 0x3f737871, v36
	v_fmac_f32_e32 v69, 0xbf167918, v37
	v_add_f32_e32 v45, v45, v46
	v_fmac_f32_e32 v67, 0x3f167918, v37
	v_fmac_f32_e32 v69, 0x3e9e377a, v45
	;; [unrolled: 1-line block ×3, first 2 shown]
	v_add_f32_e32 v45, v90, v131
	v_fmac_f32_e32 v39, -0.5, v45
	v_fmac_f32_e32 v44, v71, v2
	v_mov_b32_e32 v71, v39
	v_fmac_f32_e32 v71, 0x3f737871, v37
	v_fmac_f32_e32 v39, 0xbf737871, v37
	;; [unrolled: 1-line block ×4, first 2 shown]
	v_add_f32_e32 v36, v32, v49
	v_fma_f32 v50, v50, v20, -v136
	v_add_f32_e32 v36, v36, v59
	v_add_f32_e32 v36, v36, v50
	;; [unrolled: 1-line block ×4, first 2 shown]
	v_sub_f32_e32 v45, v127, v90
	v_sub_f32_e32 v46, v129, v131
	v_fma_f32 v76, -0.5, v36, v32
	v_add_f32_e32 v51, v51, v79
	v_add_f32_e32 v45, v45, v46
	v_sub_f32_e32 v36, v133, v143
	v_mov_b32_e32 v79, v76
	v_fmac_f32_e32 v71, 0x3e9e377a, v45
	v_fmac_f32_e32 v39, 0x3e9e377a, v45
	;; [unrolled: 1-line block ×3, first 2 shown]
	v_sub_f32_e32 v37, v135, v137
	v_sub_f32_e32 v45, v49, v59
	;; [unrolled: 1-line block ×3, first 2 shown]
	v_fmac_f32_e32 v76, 0xbf737871, v36
	v_fmac_f32_e32 v79, 0x3f167918, v37
	v_add_f32_e32 v45, v45, v46
	v_fmac_f32_e32 v76, 0xbf167918, v37
	v_fmac_f32_e32 v79, 0x3e9e377a, v45
	;; [unrolled: 1-line block ×3, first 2 shown]
	v_add_f32_e32 v45, v49, v89
	v_fma_f32 v32, -0.5, v45, v32
	v_mov_b32_e32 v81, v32
	v_fmac_f32_e32 v81, 0xbf737871, v37
	v_fmac_f32_e32 v32, 0x3f737871, v37
	;; [unrolled: 1-line block ×4, first 2 shown]
	v_add_f32_e32 v36, v33, v133
	v_add_f32_e32 v36, v36, v135
	;; [unrolled: 1-line block ×5, first 2 shown]
	v_sub_f32_e32 v45, v59, v49
	v_sub_f32_e32 v46, v50, v89
	v_fma_f32 v77, -0.5, v36, v33
	v_add_f32_e32 v45, v45, v46
	v_sub_f32_e32 v36, v49, v89
	v_mov_b32_e32 v80, v77
	v_fmac_f32_e32 v81, 0x3e9e377a, v45
	v_fmac_f32_e32 v32, 0x3e9e377a, v45
	;; [unrolled: 1-line block ×3, first 2 shown]
	v_sub_f32_e32 v37, v59, v50
	v_sub_f32_e32 v45, v133, v135
	;; [unrolled: 1-line block ×3, first 2 shown]
	v_fmac_f32_e32 v77, 0x3f737871, v36
	v_fmac_f32_e32 v80, 0xbf167918, v37
	v_add_f32_e32 v45, v45, v46
	v_fmac_f32_e32 v77, 0x3f167918, v37
	v_fmac_f32_e32 v80, 0x3e9e377a, v45
	;; [unrolled: 1-line block ×3, first 2 shown]
	v_add_f32_e32 v45, v133, v143
	v_fmac_f32_e32 v33, -0.5, v45
	v_sub_f32_e32 v45, v135, v133
	v_sub_f32_e32 v46, v137, v143
	v_mov_b32_e32 v82, v33
	v_add_f32_e32 v45, v45, v46
	v_sub_f32_e32 v46, v34, v35
	v_sub_f32_e32 v47, v42, v40
	;; [unrolled: 1-line block ×4, first 2 shown]
	v_fmac_f32_e32 v82, 0x3f737871, v37
	v_fmac_f32_e32 v33, 0xbf737871, v37
	v_add_f32_e32 v46, v46, v47
	v_add_f32_e32 v47, v34, v42
	;; [unrolled: 1-line block ×4, first 2 shown]
	v_fmac_f32_e32 v82, 0xbf167918, v36
	v_fmac_f32_e32 v33, 0x3f167918, v36
	v_fma_f32 v129, -0.5, v47, v60
	v_fma_f32 v130, -0.5, v59, v61
	v_fmac_f32_e32 v82, 0x3e9e377a, v45
	v_fmac_f32_e32 v33, 0x3e9e377a, v45
	v_sub_f32_e32 v45, v41, v43
	v_mov_b32_e32 v131, v129
	v_sub_f32_e32 v47, v35, v34
	v_sub_f32_e32 v48, v40, v42
	;; [unrolled: 1-line block ×3, first 2 shown]
	v_mov_b32_e32 v132, v130
	v_sub_f32_e32 v37, v73, v44
	v_fmac_f32_e32 v131, 0xbf737871, v45
	v_add_f32_e32 v47, v47, v48
	v_fmac_f32_e32 v129, 0x3f737871, v45
	v_sub_f32_e32 v48, v34, v42
	v_fmac_f32_e32 v132, 0x3f737871, v49
	v_sub_f32_e32 v59, v41, v73
	v_sub_f32_e32 v89, v43, v44
	v_fmac_f32_e32 v130, 0xbf737871, v49
	v_fmac_f32_e32 v131, 0x3f167918, v37
	;; [unrolled: 1-line block ×4, first 2 shown]
	v_add_f32_e32 v59, v59, v89
	v_fmac_f32_e32 v130, 0x3f167918, v48
	v_add_f32_e32 v36, v35, v40
	v_fmac_f32_e32 v131, 0x3e9e377a, v47
	v_fmac_f32_e32 v129, 0x3e9e377a, v47
	v_add_f32_e32 v47, v41, v43
	v_fmac_f32_e32 v132, 0x3e9e377a, v59
	v_fmac_f32_e32 v130, 0x3e9e377a, v59
	v_mul_u32_u24_e32 v59, 0x55, v83
	v_fma_f32 v36, -0.5, v36, v60
	v_fma_f32 v47, -0.5, v47, v61
	v_add_lshl_u32 v143, v59, v84, 3
	v_mov_b32_e32 v127, v36
	v_mov_b32_e32 v128, v47
	ds_write2_b64 v143, v[51:52], v[55:56] offset1:17
	ds_write2_b64 v143, v[62:63], v[57:58] offset0:34 offset1:51
	ds_write_b64 v143, v[53:54] offset:544
	v_mul_u32_u24_e32 v51, 0x55, v85
	v_fmac_f32_e32 v127, 0xbf737871, v37
	v_fmac_f32_e32 v128, 0x3f737871, v48
	v_add_lshl_u32 v144, v51, v86, 3
	v_fmac_f32_e32 v127, 0xbf167918, v45
	v_fmac_f32_e32 v128, 0x3f167918, v49
	ds_write2_b64 v144, v[64:65], v[68:69] offset1:17
	ds_write2_b64 v144, v[70:71], v[38:39] offset0:34 offset1:51
	ds_write_b64 v144, v[66:67] offset:544
	v_mul_u32_u24_e32 v38, 0x55, v87
	v_fmac_f32_e32 v127, 0x3e9e377a, v46
	v_fmac_f32_e32 v128, 0x3e9e377a, v50
	v_add_lshl_u32 v145, v38, v88, 3
	ds_write2_b64 v145, v[74:75], v[79:80] offset1:17
	ds_write2_b64 v145, v[81:82], v[32:33] offset0:34 offset1:51
	ds_write_b64 v145, v[76:77] offset:544
	s_and_saveexec_b64 s[4:5], vcc
	s_cbranch_execz .LBB0_5
; %bb.4:
	v_mul_f32_e32 v33, 0x3f737871, v48
	v_mul_f32_e32 v32, 0x3f737871, v37
	;; [unrolled: 1-line block ×3, first 2 shown]
	v_sub_f32_e32 v33, v47, v33
	v_add_f32_e32 v34, v60, v34
	v_sub_f32_e32 v33, v33, v37
	v_add_f32_e32 v37, v61, v73
	v_add_f32_e32 v34, v34, v35
	v_mul_f32_e32 v38, 0x3f167918, v45
	v_add_f32_e32 v37, v37, v41
	v_add_f32_e32 v32, v36, v32
	;; [unrolled: 1-line block ×3, first 2 shown]
	s_movk_i32 s6, 0x55
	v_mul_f32_e32 v39, 0x3e9e377a, v46
	v_mul_f32_e32 v45, 0x3e9e377a, v50
	v_add_f32_e32 v37, v37, v43
	v_add_f32_e32 v32, v38, v32
	;; [unrolled: 1-line block ×3, first 2 shown]
	v_mad_legacy_u16 v34, v141, s6, v142
	v_add_f32_e32 v33, v45, v33
	v_add_f32_e32 v37, v37, v44
	;; [unrolled: 1-line block ×3, first 2 shown]
	v_lshlrev_b32_e32 v34, 3, v34
	ds_write2_b64 v34, v[36:37], v[32:33] offset1:17
	ds_write2_b64 v34, v[131:132], v[129:130] offset0:34 offset1:51
	ds_write_b64 v34, v[127:128] offset:544
.LBB0_5:
	s_or_b64 exec, exec, s[4:5]
	v_lshlrev_b32_e32 v64, 7, v140
	s_waitcnt lgkmcnt(0)
	s_barrier
	global_load_dwordx4 v[56:59], v64, s[14:15] offset:544
	global_load_dwordx4 v[48:51], v64, s[14:15] offset:560
	;; [unrolled: 1-line block ×8, first 2 shown]
	ds_read2_b64 v[87:90], v139 offset1:85
	ds_read2_b64 v[133:136], v139 offset0:170 offset1:255
	ds_read_b64 v[64:65], v139 offset:10880
	v_add_u32_e32 v79, 0x800, v139
	v_add_u32_e32 v66, 0xc00, v139
	;; [unrolled: 1-line block ×6, first 2 shown]
	ds_read2_b64 v[146:149], v79 offset0:84 offset1:169
	ds_read2_b64 v[150:153], v66 offset0:126 offset1:211
	;; [unrolled: 1-line block ×6, first 2 shown]
	v_mov_b32_e32 v67, s13
	s_mov_b32 s6, 0x3f3d2fb0
	s_mov_b32 s5, 0x3ee437d1
	;; [unrolled: 1-line block ×6, first 2 shown]
	s_movk_i32 s16, 0x2000
	v_addc_co_u32_e64 v67, s[0:1], 0, v67, s[0:1]
	s_movk_i32 s17, 0x2d28
	s_waitcnt vmcnt(7) lgkmcnt(8)
	v_mul_f32_e32 v70, v90, v57
	v_mul_f32_e32 v91, v89, v57
	s_waitcnt vmcnt(5) lgkmcnt(4)
	v_mul_f32_e32 v82, v150, v43
	v_mul_f32_e32 v71, v134, v59
	;; [unrolled: 1-line block ×4, first 2 shown]
	s_waitcnt vmcnt(4)
	v_mul_f32_e32 v172, v153, v33
	v_fma_f32 v89, v89, v56, -v70
	v_fmac_f32_e32 v82, v151, v42
	s_waitcnt vmcnt(0)
	v_mul_f32_e32 v151, v65, v39
	v_mul_f32_e32 v138, v133, v59
	;; [unrolled: 1-line block ×3, first 2 shown]
	v_fmac_f32_e32 v91, v90, v56
	v_fma_f32 v90, v133, v58, -v71
	v_fma_f32 v133, v135, v48, -v76
	;; [unrolled: 1-line block ×4, first 2 shown]
	v_mul_f32_e32 v152, v64, v39
	v_add_f32_e32 v64, v87, v89
	v_mul_f32_e32 v170, v135, v49
	v_mul_f32_e32 v77, v147, v51
	v_fmac_f32_e32 v138, v134, v58
	v_fmac_f32_e32 v152, v65, v38
	v_add_f32_e32 v65, v88, v91
	v_add_f32_e32 v64, v64, v90
	v_mul_f32_e32 v171, v146, v51
	v_mul_f32_e32 v84, v149, v41
	v_fmac_f32_e32 v170, v136, v48
	v_fma_f32 v134, v146, v50, -v77
	v_add_f32_e32 v65, v65, v138
	v_add_f32_e32 v64, v64, v133
	v_mul_f32_e32 v86, v148, v41
	v_fmac_f32_e32 v171, v147, v50
	v_fma_f32 v135, v148, v40, -v84
	v_add_f32_e32 v65, v65, v170
	v_add_f32_e32 v64, v64, v134
	v_fmac_f32_e32 v86, v149, v40
	v_fma_f32 v84, v150, v42, -v85
	v_add_f32_e32 v65, v65, v171
	v_add_f32_e32 v64, v64, v135
	s_waitcnt lgkmcnt(3)
	v_mul_f32_e32 v173, v155, v35
	v_add_f32_e32 v65, v65, v86
	v_add_f32_e32 v64, v64, v84
	v_mul_f32_e32 v68, v154, v35
	v_mul_f32_e32 v174, v157, v61
	v_fmac_f32_e32 v74, v153, v32
	v_fma_f32 v70, v154, v34, -v173
	v_add_f32_e32 v65, v65, v82
	v_add_f32_e32 v64, v64, v76
	v_mul_f32_e32 v69, v156, v61
	s_waitcnt lgkmcnt(2)
	v_mul_f32_e32 v175, v159, v63
	v_fmac_f32_e32 v68, v155, v34
	v_fma_f32 v71, v156, v60, -v174
	v_add_f32_e32 v65, v65, v74
	v_add_f32_e32 v64, v64, v70
	v_mul_f32_e32 v75, v158, v63
	v_mul_f32_e32 v176, v161, v53
	v_fmac_f32_e32 v69, v157, v60
	v_fma_f32 v77, v158, v62, -v175
	v_add_f32_e32 v65, v65, v68
	v_add_f32_e32 v64, v64, v71
	v_mul_f32_e32 v83, v160, v53
	s_waitcnt lgkmcnt(1)
	v_mul_f32_e32 v177, v163, v55
	v_fmac_f32_e32 v75, v159, v62
	v_fma_f32 v85, v160, v52, -v176
	v_add_f32_e32 v65, v65, v69
	v_add_f32_e32 v64, v64, v77
	v_mul_f32_e32 v178, v162, v55
	v_mul_f32_e32 v179, v165, v45
	v_fmac_f32_e32 v83, v161, v52
	v_fma_f32 v136, v162, v54, -v177
	v_add_f32_e32 v65, v65, v75
	v_add_f32_e32 v64, v64, v85
	v_mul_f32_e32 v180, v164, v45
	v_fmac_f32_e32 v178, v163, v54
	v_fma_f32 v146, v164, v44, -v179
	s_waitcnt lgkmcnt(0)
	v_mul_f32_e32 v147, v167, v47
	v_add_f32_e32 v65, v65, v83
	v_add_f32_e32 v64, v64, v136
	v_fmac_f32_e32 v180, v165, v44
	v_fma_f32 v147, v166, v46, -v147
	v_mul_f32_e32 v148, v166, v47
	v_mul_f32_e32 v149, v169, v37
	v_add_f32_e32 v65, v65, v178
	v_add_f32_e32 v64, v64, v146
	v_fmac_f32_e32 v148, v167, v46
	v_fma_f32 v149, v168, v36, -v149
	v_mul_f32_e32 v150, v168, v37
	v_add_f32_e32 v65, v65, v180
	v_add_f32_e32 v64, v64, v147
	v_fmac_f32_e32 v150, v169, v36
	v_add_f32_e32 v65, v65, v148
	v_add_f32_e32 v64, v64, v149
	;; [unrolled: 1-line block ×4, first 2 shown]
	v_sub_f32_e32 v89, v89, v151
	v_sub_f32_e32 v91, v91, v152
	v_add_f32_e32 v65, v65, v150
	v_add_f32_e32 v64, v64, v151
	v_mul_f32_e32 v151, 0xbeb8f4ab, v91
	v_mul_f32_e32 v155, 0xbeb8f4ab, v89
	;; [unrolled: 1-line block ×16, first 2 shown]
	v_add_f32_e32 v65, v65, v152
	v_fma_f32 v152, v153, s12, -v151
	v_mov_b32_e32 v156, v155
	v_fmac_f32_e32 v151, 0x3f6eb680, v153
	v_fma_f32 v158, v153, s6, -v157
	v_mov_b32_e32 v160, v159
	v_fmac_f32_e32 v157, 0x3f3d2fb0, v153
	;; [unrolled: 3-line block ×8, first 2 shown]
	v_add_f32_e32 v152, v87, v152
	v_fmac_f32_e32 v156, 0x3f6eb680, v154
	v_add_f32_e32 v151, v87, v151
	v_fma_f32 v155, v154, s12, -v155
	v_add_f32_e32 v158, v87, v158
	v_fmac_f32_e32 v160, 0x3f3d2fb0, v154
	v_add_f32_e32 v157, v87, v157
	v_fma_f32 v159, v154, s6, -v159
	;; [unrolled: 4-line block ×8, first 2 shown]
	v_add_f32_e32 v91, v138, v150
	v_sub_f32_e32 v138, v138, v150
	v_add_f32_e32 v156, v88, v156
	v_add_f32_e32 v155, v88, v155
	;; [unrolled: 1-line block ×17, first 2 shown]
	v_sub_f32_e32 v90, v90, v149
	v_mul_f32_e32 v149, 0xbf2c7751, v138
	v_fma_f32 v150, v89, s6, -v149
	v_add_f32_e32 v150, v150, v152
	v_mul_f32_e32 v152, 0xbf2c7751, v90
	v_fmac_f32_e32 v149, 0x3f3d2fb0, v89
	v_mov_b32_e32 v153, v152
	v_add_f32_e32 v149, v149, v151
	v_fma_f32 v151, v91, s6, -v152
	v_mul_f32_e32 v152, 0xbf7ee86f, v138
	v_fmac_f32_e32 v153, 0x3f3d2fb0, v91
	v_add_f32_e32 v151, v151, v155
	v_fma_f32 v154, v89, s4, -v152
	v_mul_f32_e32 v155, 0xbf7ee86f, v90
	v_fmac_f32_e32 v152, 0x3dbcf732, v89
	v_add_f32_e32 v153, v153, v156
	v_mov_b32_e32 v156, v155
	v_add_f32_e32 v152, v152, v157
	v_fma_f32 v155, v91, s4, -v155
	v_mul_f32_e32 v157, 0xbf4c4adb, v138
	v_add_f32_e32 v154, v154, v158
	v_fmac_f32_e32 v156, 0x3dbcf732, v91
	v_add_f32_e32 v155, v155, v159
	v_fma_f32 v158, v89, s13, -v157
	v_mul_f32_e32 v159, 0xbf4c4adb, v90
	v_fmac_f32_e32 v157, 0xbf1a4643, v89
	v_add_f32_e32 v156, v156, v160
	v_mov_b32_e32 v160, v159
	v_add_f32_e32 v157, v157, v161
	v_fma_f32 v159, v91, s13, -v159
	v_mul_f32_e32 v161, 0xbe3c28d5, v138
	v_add_f32_e32 v158, v158, v162
	;; [unrolled: 11-line block ×5, first 2 shown]
	v_fmac_f32_e32 v174, 0xbe8c1d8e, v91
	v_add_f32_e32 v173, v173, v177
	v_fma_f32 v176, v89, s5, -v175
	v_mul_f32_e32 v177, 0x3f65296c, v90
	v_fmac_f32_e32 v175, 0x3ee437d1, v89
	v_mul_f32_e32 v138, 0x3eb8f4ab, v138
	v_mul_f32_e32 v90, 0x3eb8f4ab, v90
	v_add_f32_e32 v174, v174, v179
	v_add_f32_e32 v176, v176, v182
	v_mov_b32_e32 v179, v177
	v_add_f32_e32 v175, v175, v181
	v_fma_f32 v181, v89, s12, -v138
	v_mov_b32_e32 v182, v90
	v_fmac_f32_e32 v138, 0x3f6eb680, v89
	v_fma_f32 v89, v91, s12, -v90
	v_fmac_f32_e32 v179, 0x3ee437d1, v91
	v_fma_f32 v177, v91, s5, -v177
	v_fmac_f32_e32 v182, 0x3f6eb680, v91
	v_add_f32_e32 v88, v89, v88
	v_add_f32_e32 v89, v133, v147
	v_sub_f32_e32 v91, v133, v147
	v_sub_f32_e32 v133, v170, v148
	v_add_f32_e32 v87, v138, v87
	v_mul_f32_e32 v138, 0xbf65296c, v133
	v_add_f32_e32 v90, v170, v148
	v_fma_f32 v147, v89, s5, -v138
	v_mul_f32_e32 v148, 0xbf65296c, v91
	v_add_f32_e32 v147, v147, v150
	v_mov_b32_e32 v150, v148
	v_fmac_f32_e32 v138, 0x3ee437d1, v89
	v_fmac_f32_e32 v150, 0x3ee437d1, v90
	v_add_f32_e32 v138, v138, v149
	v_fma_f32 v148, v90, s5, -v148
	v_mul_f32_e32 v149, 0xbf4c4adb, v133
	v_add_f32_e32 v150, v150, v153
	v_add_f32_e32 v148, v148, v151
	v_fma_f32 v151, v89, s13, -v149
	v_mul_f32_e32 v153, 0xbf4c4adb, v91
	v_add_f32_e32 v151, v151, v154
	v_mov_b32_e32 v154, v153
	v_fmac_f32_e32 v149, 0xbf1a4643, v89
	v_fmac_f32_e32 v154, 0xbf1a4643, v90
	v_add_f32_e32 v149, v149, v152
	v_fma_f32 v152, v90, s13, -v153
	v_mul_f32_e32 v153, 0x3e3c28d5, v133
	v_add_f32_e32 v154, v154, v156
	;; [unrolled: 11-line block ×4, first 2 shown]
	v_add_f32_e32 v160, v160, v163
	v_fma_f32 v163, v89, s6, -v161
	v_mul_f32_e32 v164, 0x3f2c7751, v91
	v_fmac_f32_e32 v161, 0x3f3d2fb0, v89
	v_add_f32_e32 v163, v163, v166
	v_mov_b32_e32 v166, v164
	v_add_f32_e32 v161, v161, v165
	v_fma_f32 v164, v90, s6, -v164
	v_mul_f32_e32 v165, 0xbeb8f4ab, v133
	v_fmac_f32_e32 v166, 0x3f3d2fb0, v90
	v_add_f32_e32 v164, v164, v167
	v_fma_f32 v167, v89, s12, -v165
	v_fmac_f32_e32 v165, 0x3f6eb680, v89
	v_add_f32_e32 v166, v166, v168
	v_mul_f32_e32 v168, 0xbeb8f4ab, v91
	v_add_f32_e32 v165, v165, v169
	v_mul_f32_e32 v169, 0xbf7ee86f, v133
	v_add_f32_e32 v167, v167, v172
	v_mov_b32_e32 v170, v168
	v_fma_f32 v168, v90, s12, -v168
	v_fma_f32 v172, v89, s4, -v169
	v_fmac_f32_e32 v169, 0x3dbcf732, v89
	v_mul_f32_e32 v133, 0xbf06c442, v133
	v_add_f32_e32 v168, v168, v173
	v_mul_f32_e32 v173, 0xbf7ee86f, v91
	v_add_f32_e32 v169, v169, v175
	v_fma_f32 v175, v89, s14, -v133
	v_mul_f32_e32 v91, 0xbf06c442, v91
	v_fmac_f32_e32 v133, 0xbf59a7d5, v89
	v_add_f32_e32 v87, v133, v87
	v_fma_f32 v89, v90, s14, -v91
	v_sub_f32_e32 v133, v171, v180
	v_fmac_f32_e32 v170, 0x3f6eb680, v90
	v_add_f32_e32 v172, v172, v176
	v_mov_b32_e32 v176, v91
	v_add_f32_e32 v88, v89, v88
	v_add_f32_e32 v89, v134, v146
	v_sub_f32_e32 v91, v134, v146
	v_mul_f32_e32 v134, 0xbf7ee86f, v133
	v_add_f32_e32 v170, v170, v174
	v_mov_b32_e32 v174, v173
	v_fma_f32 v146, v89, s4, -v134
	v_fmac_f32_e32 v174, 0x3dbcf732, v90
	v_fma_f32 v173, v90, s4, -v173
	v_fmac_f32_e32 v176, 0xbf59a7d5, v90
	v_add_f32_e32 v90, v171, v180
	v_add_f32_e32 v146, v146, v147
	v_mul_f32_e32 v147, 0xbf7ee86f, v91
	v_fmac_f32_e32 v134, 0x3dbcf732, v89
	v_mov_b32_e32 v171, v147
	v_add_f32_e32 v134, v134, v138
	v_fma_f32 v138, v90, s4, -v147
	v_mul_f32_e32 v147, 0xbe3c28d5, v133
	v_add_f32_e32 v138, v138, v148
	v_fma_f32 v148, v89, s15, -v147
	v_fmac_f32_e32 v171, 0x3dbcf732, v90
	v_add_f32_e32 v148, v148, v151
	v_mul_f32_e32 v151, 0xbe3c28d5, v91
	v_fmac_f32_e32 v147, 0xbf7ba420, v89
	v_add_f32_e32 v150, v171, v150
	v_mov_b32_e32 v171, v151
	v_add_f32_e32 v147, v147, v149
	v_fma_f32 v149, v90, s15, -v151
	v_mul_f32_e32 v151, 0x3f763a35, v133
	v_add_f32_e32 v149, v149, v152
	v_fma_f32 v152, v89, s7, -v151
	v_fmac_f32_e32 v171, 0xbf7ba420, v90
	v_add_f32_e32 v152, v152, v155
	v_mul_f32_e32 v155, 0x3f763a35, v91
	v_fmac_f32_e32 v151, 0xbe8c1d8e, v89
	v_add_f32_e32 v154, v171, v154
	;; [unrolled: 11-line block ×4, first 2 shown]
	v_mov_b32_e32 v171, v163
	v_add_f32_e32 v159, v159, v161
	v_fma_f32 v161, v90, s5, -v163
	v_mul_f32_e32 v163, 0xbf06c442, v133
	v_add_f32_e32 v161, v161, v164
	v_fma_f32 v164, v89, s14, -v163
	v_fmac_f32_e32 v171, 0x3ee437d1, v90
	v_add_f32_e32 v164, v164, v167
	v_mul_f32_e32 v167, 0xbf06c442, v91
	v_add_f32_e32 v166, v171, v166
	v_mov_b32_e32 v171, v167
	v_fmac_f32_e32 v163, 0xbf59a7d5, v89
	v_fmac_f32_e32 v171, 0xbf59a7d5, v90
	v_add_f32_e32 v163, v163, v165
	v_fma_f32 v165, v90, s14, -v167
	v_mul_f32_e32 v167, 0x3f4c4adb, v133
	v_add_f32_e32 v177, v177, v183
	v_add_f32_e32 v170, v171, v170
	;; [unrolled: 1-line block ×3, first 2 shown]
	v_fma_f32 v168, v89, s13, -v167
	v_mul_f32_e32 v171, 0x3f4c4adb, v91
	v_fmac_f32_e32 v167, 0xbf1a4643, v89
	v_add_f32_e32 v173, v173, v177
	v_add_f32_e32 v167, v167, v169
	v_fma_f32 v169, v90, s13, -v171
	v_mul_f32_e32 v91, 0x3f2c7751, v91
	v_add_f32_e32 v168, v168, v172
	v_mov_b32_e32 v172, v171
	v_add_f32_e32 v169, v169, v173
	v_mul_f32_e32 v133, 0x3f2c7751, v133
	v_mov_b32_e32 v173, v91
	v_fmac_f32_e32 v172, 0xbf1a4643, v90
	v_fma_f32 v171, v89, s6, -v133
	v_fmac_f32_e32 v173, 0x3f3d2fb0, v90
	v_fmac_f32_e32 v133, 0x3f3d2fb0, v89
	v_fma_f32 v89, v90, s6, -v91
	v_add_f32_e32 v90, v86, v178
	v_sub_f32_e32 v86, v86, v178
	v_add_f32_e32 v87, v133, v87
	v_add_f32_e32 v88, v89, v88
	;; [unrolled: 1-line block ×3, first 2 shown]
	v_sub_f32_e32 v91, v135, v136
	v_mul_f32_e32 v133, 0xbf763a35, v86
	v_fma_f32 v135, v89, s7, -v133
	v_mul_f32_e32 v136, 0xbf763a35, v91
	v_fmac_f32_e32 v133, 0xbe8c1d8e, v89
	v_add_f32_e32 v135, v135, v146
	v_mov_b32_e32 v146, v136
	v_add_f32_e32 v133, v133, v134
	v_fma_f32 v134, v90, s7, -v136
	v_mul_f32_e32 v136, 0x3f06c442, v86
	v_add_f32_e32 v134, v134, v138
	v_fma_f32 v138, v89, s14, -v136
	v_fmac_f32_e32 v146, 0xbe8c1d8e, v90
	v_add_f32_e32 v138, v138, v148
	v_mul_f32_e32 v148, 0x3f06c442, v91
	v_fmac_f32_e32 v136, 0xbf59a7d5, v89
	v_add_f32_e32 v146, v146, v150
	v_mov_b32_e32 v150, v148
	v_add_f32_e32 v136, v136, v147
	v_fma_f32 v147, v90, s14, -v148
	v_mul_f32_e32 v148, 0x3f2c7751, v86
	v_add_f32_e32 v147, v147, v149
	v_fma_f32 v149, v89, s6, -v148
	v_fmac_f32_e32 v150, 0xbf59a7d5, v90
	v_add_f32_e32 v149, v149, v152
	;; [unrolled: 11-line block ×6, first 2 shown]
	v_mul_f32_e32 v168, 0xbeb8f4ab, v91
	v_fmac_f32_e32 v164, 0x3f6eb680, v89
	v_mul_f32_e32 v86, 0xbf4c4adb, v86
	v_add_f32_e32 v166, v166, v170
	v_mov_b32_e32 v170, v168
	v_add_f32_e32 v164, v164, v167
	v_fma_f32 v167, v90, s12, -v168
	v_fma_f32 v168, v89, s13, -v86
	v_mul_f32_e32 v91, 0xbf4c4adb, v91
	v_fmac_f32_e32 v86, 0xbf1a4643, v89
	v_add_f32_e32 v86, v86, v87
	v_fma_f32 v87, v90, s13, -v91
	v_add_f32_e32 v89, v82, v83
	v_sub_f32_e32 v82, v82, v83
	v_add_f32_e32 v167, v167, v169
	v_mov_b32_e32 v169, v91
	v_add_f32_e32 v87, v87, v88
	v_add_f32_e32 v88, v84, v85
	v_sub_f32_e32 v84, v84, v85
	v_mul_f32_e32 v83, 0xbf4c4adb, v82
	v_fmac_f32_e32 v170, 0x3f6eb680, v90
	v_fmac_f32_e32 v169, 0xbf1a4643, v90
	v_fma_f32 v85, v88, s13, -v83
	v_mul_f32_e32 v90, 0xbf4c4adb, v84
	v_fmac_f32_e32 v83, 0xbf1a4643, v88
	v_mov_b32_e32 v91, v90
	v_add_f32_e32 v83, v83, v133
	v_fma_f32 v90, v89, s13, -v90
	v_mul_f32_e32 v133, 0x3f763a35, v82
	v_add_f32_e32 v85, v85, v135
	v_add_f32_e32 v90, v90, v134
	v_fma_f32 v134, v88, s7, -v133
	v_mul_f32_e32 v135, 0x3f763a35, v84
	v_fmac_f32_e32 v133, 0xbe8c1d8e, v88
	v_fmac_f32_e32 v91, 0xbf1a4643, v89
	v_add_f32_e32 v134, v134, v138
	v_mov_b32_e32 v138, v135
	v_add_f32_e32 v133, v133, v136
	v_fma_f32 v135, v89, s7, -v135
	v_mul_f32_e32 v136, 0xbeb8f4ab, v82
	v_add_f32_e32 v91, v91, v146
	v_add_f32_e32 v135, v135, v147
	v_fma_f32 v146, v88, s12, -v136
	v_mul_f32_e32 v147, 0xbeb8f4ab, v84
	v_fmac_f32_e32 v136, 0x3f6eb680, v88
	v_fmac_f32_e32 v138, 0xbe8c1d8e, v89
	v_add_f32_e32 v146, v146, v149
	;; [unrolled: 11-line block ×4, first 2 shown]
	v_mov_b32_e32 v157, v155
	v_add_f32_e32 v152, v152, v156
	v_fma_f32 v155, v89, s4, -v155
	v_mul_f32_e32 v156, 0xbf2c7751, v82
	v_add_f32_e32 v153, v153, v158
	v_add_f32_e32 v155, v155, v159
	v_fma_f32 v158, v88, s6, -v156
	v_mul_f32_e32 v159, 0xbf2c7751, v84
	v_add_f32_e32 v158, v158, v161
	v_mov_b32_e32 v161, v159
	v_fmac_f32_e32 v156, 0x3f3d2fb0, v88
	v_fma_f32 v159, v89, s6, -v159
	v_fmac_f32_e32 v157, 0x3dbcf732, v89
	v_fmac_f32_e32 v161, 0x3f3d2fb0, v89
	v_add_f32_e32 v156, v156, v160
	v_add_f32_e32 v159, v159, v163
	v_mul_f32_e32 v160, 0xbe3c28d5, v82
	v_mul_f32_e32 v163, 0xbe3c28d5, v84
	v_mul_f32_e32 v84, 0x3f65296c, v84
	v_add_f32_e32 v157, v157, v162
	v_add_f32_e32 v161, v161, v166
	v_fma_f32 v162, v88, s15, -v160
	v_fmac_f32_e32 v160, 0xbf7ba420, v88
	v_mul_f32_e32 v82, 0x3f65296c, v82
	v_mov_b32_e32 v166, v84
	v_fma_f32 v84, v89, s5, -v84
	v_add_f32_e32 v160, v160, v164
	v_fma_f32 v164, v88, s5, -v82
	v_fmac_f32_e32 v82, 0x3ee437d1, v88
	v_add_f32_e32 v84, v84, v87
	v_add_f32_e32 v87, v74, v75
	v_sub_f32_e32 v74, v74, v75
	v_add_f32_e32 v82, v82, v86
	v_add_f32_e32 v86, v76, v77
	v_mul_f32_e32 v75, 0xbf06c442, v74
	v_sub_f32_e32 v76, v76, v77
	v_fma_f32 v77, v86, s14, -v75
	v_add_f32_e32 v77, v77, v85
	v_mul_f32_e32 v85, 0xbf06c442, v76
	v_fmac_f32_e32 v75, 0xbf59a7d5, v86
	v_mov_b32_e32 v88, v85
	v_add_f32_e32 v75, v75, v83
	v_fma_f32 v83, v87, s14, -v85
	v_add_f32_e32 v162, v162, v165
	v_mov_b32_e32 v165, v163
	v_fmac_f32_e32 v88, 0xbf59a7d5, v87
	v_add_f32_e32 v83, v83, v90
	v_mul_f32_e32 v85, 0x3f65296c, v74
	v_mul_f32_e32 v90, 0x3f65296c, v76
	v_fmac_f32_e32 v165, 0xbf7ba420, v89
	v_fma_f32 v163, v89, s15, -v163
	v_fmac_f32_e32 v166, 0x3ee437d1, v89
	v_add_f32_e32 v88, v88, v91
	v_fma_f32 v89, v86, s5, -v85
	v_mov_b32_e32 v91, v90
	v_fmac_f32_e32 v85, 0x3ee437d1, v86
	v_fma_f32 v90, v87, s5, -v90
	v_fmac_f32_e32 v91, 0x3ee437d1, v87
	v_add_f32_e32 v85, v85, v133
	v_add_f32_e32 v90, v90, v135
	v_mul_f32_e32 v133, 0xbf7ee86f, v74
	v_mul_f32_e32 v135, 0xbf7ee86f, v76
	v_add_f32_e32 v89, v89, v134
	v_add_f32_e32 v91, v91, v138
	v_fma_f32 v134, v86, s4, -v133
	v_mov_b32_e32 v138, v135
	v_fmac_f32_e32 v133, 0x3dbcf732, v86
	v_fma_f32 v135, v87, s4, -v135
	v_fmac_f32_e32 v138, 0x3dbcf732, v87
	v_add_f32_e32 v133, v133, v136
	v_add_f32_e32 v135, v135, v147
	v_mul_f32_e32 v136, 0x3f4c4adb, v74
	v_mul_f32_e32 v147, 0x3f4c4adb, v76
	v_add_f32_e32 v134, v134, v146
	;; [unrolled: 11-line block ×3, first 2 shown]
	v_add_f32_e32 v149, v149, v153
	v_fma_f32 v150, v86, s12, -v148
	v_mov_b32_e32 v153, v151
	v_fmac_f32_e32 v148, 0x3f6eb680, v86
	v_fma_f32 v151, v87, s12, -v151
	v_add_f32_e32 v179, v179, v184
	v_add_f32_e32 v181, v181, v185
	v_fmac_f32_e32 v153, 0x3f6eb680, v87
	v_add_f32_e32 v148, v148, v152
	v_add_f32_e32 v151, v151, v155
	v_mul_f32_e32 v152, 0xbe3c28d5, v74
	v_mul_f32_e32 v155, 0xbe3c28d5, v76
	v_add_f32_e32 v182, v182, v186
	v_add_f32_e32 v174, v174, v179
	;; [unrolled: 1-line block ×5, first 2 shown]
	v_fma_f32 v154, v86, s15, -v152
	v_mov_b32_e32 v157, v155
	v_fmac_f32_e32 v152, 0xbf7ba420, v86
	v_fma_f32 v155, v87, s15, -v155
	v_add_f32_e32 v176, v176, v182
	v_add_f32_e32 v172, v172, v174
	;; [unrolled: 1-line block ×3, first 2 shown]
	v_fmac_f32_e32 v157, 0xbf7ba420, v87
	v_add_f32_e32 v152, v152, v156
	v_add_f32_e32 v155, v155, v159
	v_mul_f32_e32 v156, 0x3f2c7751, v74
	v_mul_f32_e32 v159, 0x3f2c7751, v76
	v_add_f32_e32 v173, v173, v176
	v_add_f32_e32 v170, v170, v172
	;; [unrolled: 1-line block ×5, first 2 shown]
	v_fma_f32 v158, v86, s6, -v156
	v_mov_b32_e32 v161, v159
	v_fmac_f32_e32 v156, 0x3f3d2fb0, v86
	v_mul_f32_e32 v74, 0xbf763a35, v74
	v_mul_f32_e32 v76, 0xbf763a35, v76
	v_add_f32_e32 v169, v169, v173
	v_add_f32_e32 v165, v165, v170
	;; [unrolled: 1-line block ×5, first 2 shown]
	v_fmac_f32_e32 v161, 0x3f3d2fb0, v87
	v_add_f32_e32 v156, v156, v160
	v_fma_f32 v159, v87, s6, -v159
	v_fma_f32 v160, v86, s7, -v74
	v_mov_b32_e32 v162, v76
	v_fmac_f32_e32 v74, 0xbe8c1d8e, v86
	v_sub_f32_e32 v168, v68, v69
	v_add_f32_e32 v166, v166, v169
	v_add_f32_e32 v161, v161, v165
	;; [unrolled: 1-line block ×3, first 2 shown]
	v_fmac_f32_e32 v162, 0xbe8c1d8e, v87
	v_add_f32_e32 v163, v74, v82
	v_fma_f32 v74, v87, s7, -v76
	v_add_f32_e32 v165, v70, v71
	v_sub_f32_e32 v167, v70, v71
	v_mul_f32_e32 v76, 0x3eb8f4ab, v168
	v_add_f32_e32 v160, v160, v164
	v_add_f32_e32 v162, v162, v166
	;; [unrolled: 1-line block ×4, first 2 shown]
	v_mul_f32_e32 v71, 0xbe3c28d5, v167
	v_fma_f32 v74, v165, s12, -v76
	v_fmac_f32_e32 v76, 0x3f6eb680, v165
	v_mov_b32_e32 v69, v71
	v_fma_f32 v71, v166, s15, -v71
	v_add_f32_e32 v76, v76, v85
	v_mul_f32_e32 v85, 0xbf06c442, v167
	v_mul_f32_e32 v70, 0xbe3c28d5, v168
	v_add_f32_e32 v71, v71, v83
	v_mov_b32_e32 v83, v85
	v_fma_f32 v68, v165, s15, -v70
	v_fmac_f32_e32 v69, 0xbf7ba420, v166
	v_add_f32_e32 v74, v74, v89
	v_fmac_f32_e32 v83, 0xbf59a7d5, v166
	v_mul_f32_e32 v89, 0x3f2c7751, v167
	v_add_f32_e32 v68, v68, v77
	v_add_f32_e32 v69, v69, v88
	v_fmac_f32_e32 v70, 0xbf7ba420, v165
	v_mul_f32_e32 v77, 0x3eb8f4ab, v167
	v_mul_f32_e32 v84, 0xbf06c442, v168
	v_add_f32_e32 v83, v83, v138
	v_fma_f32 v85, v166, s14, -v85
	v_mul_f32_e32 v88, 0x3f2c7751, v168
	v_mov_b32_e32 v87, v89
	v_fma_f32 v89, v166, s6, -v89
	v_mul_f32_e32 v138, 0x3f65296c, v168
	v_add_f32_e32 v70, v70, v75
	v_mov_b32_e32 v75, v77
	v_fma_f32 v82, v165, s14, -v84
	v_fmac_f32_e32 v84, 0xbf59a7d5, v165
	v_add_f32_e32 v85, v85, v135
	v_fma_f32 v86, v165, s6, -v88
	v_add_f32_e32 v89, v89, v147
	v_fma_f32 v135, v165, s5, -v138
	v_mul_f32_e32 v147, 0x3f65296c, v167
	v_fmac_f32_e32 v138, 0x3ee437d1, v165
	v_fmac_f32_e32 v75, 0x3f6eb680, v166
	v_fma_f32 v77, v166, s12, -v77
	v_add_f32_e32 v82, v82, v134
	v_add_f32_e32 v84, v84, v133
	;; [unrolled: 1-line block ×3, first 2 shown]
	v_fmac_f32_e32 v88, 0x3f3d2fb0, v165
	v_mul_f32_e32 v133, 0xbf4c4adb, v168
	v_mul_f32_e32 v134, 0xbf4c4adb, v167
	v_add_f32_e32 v146, v138, v152
	v_fma_f32 v138, v166, s5, -v147
	v_add_f32_e32 v75, v75, v91
	v_add_f32_e32 v77, v77, v90
	;; [unrolled: 1-line block ×3, first 2 shown]
	v_fma_f32 v90, v165, s13, -v133
	v_mov_b32_e32 v91, v134
	v_fmac_f32_e32 v133, 0xbf1a4643, v165
	v_fma_f32 v134, v166, s13, -v134
	v_mov_b32_e32 v136, v147
	v_add_f32_e32 v147, v138, v155
	v_mul_f32_e32 v138, 0xbf763a35, v168
	v_add_f32_e32 v133, v133, v148
	v_add_f32_e32 v134, v134, v151
	v_fma_f32 v148, v165, s7, -v138
	v_mul_f32_e32 v151, 0xbf763a35, v167
	v_fmac_f32_e32 v138, 0xbe8c1d8e, v165
	v_fmac_f32_e32 v87, 0x3f3d2fb0, v166
	v_add_f32_e32 v90, v90, v150
	v_add_f32_e32 v150, v138, v156
	v_fma_f32 v138, v166, s7, -v151
	v_add_f32_e32 v87, v87, v149
	v_fmac_f32_e32 v91, 0xbf1a4643, v166
	v_mov_b32_e32 v149, v151
	v_add_f32_e32 v151, v138, v159
	v_mul_f32_e32 v138, 0x3f7ee86f, v168
	v_mul_f32_e32 v155, 0x3f7ee86f, v167
	v_add_f32_e32 v91, v91, v153
	v_fma_f32 v152, v165, s4, -v138
	v_mov_b32_e32 v153, v155
	v_fmac_f32_e32 v138, 0x3dbcf732, v165
	v_add_f32_e32 v135, v135, v154
	v_fmac_f32_e32 v136, 0x3ee437d1, v166
	v_fmac_f32_e32 v149, 0xbe8c1d8e, v166
	;; [unrolled: 1-line block ×3, first 2 shown]
	v_add_f32_e32 v154, v138, v163
	v_fma_f32 v138, v166, s4, -v155
	v_add_f32_e32 v136, v136, v157
	v_add_f32_e32 v148, v148, v158
	;; [unrolled: 1-line block ×6, first 2 shown]
	ds_write2_b64 v139, v[64:65], v[68:69] offset1:85
	ds_write2_b64 v139, v[74:75], v[82:83] offset0:170 offset1:255
	ds_write2_b64 v79, v[86:87], v[90:91] offset0:84 offset1:169
	;; [unrolled: 1-line block ×7, first 2 shown]
	ds_write_b64 v139, v[70:71] offset:10880
	v_add_co_u32_e64 v64, s[0:1], s16, v72
	v_addc_co_u32_e64 v65, s[0:1], 0, v67, s[0:1]
	s_waitcnt lgkmcnt(0)
	s_barrier
	global_load_dwordx2 v[64:65], v[64:65], off offset:3368
	v_add_co_u32_e64 v68, s[0:1], s17, v72
	v_addc_co_u32_e64 v69, s[0:1], 0, v67, s[0:1]
	global_load_dwordx2 v[74:75], v[68:69], off offset:680
	global_load_dwordx2 v[76:77], v[68:69], off offset:1360
	;; [unrolled: 1-line block ×5, first 2 shown]
	s_movk_i32 s0, 0x3000
	v_add_co_u32_e64 v70, s[0:1], s0, v72
	v_addc_co_u32_e64 v71, s[0:1], 0, v67, s[0:1]
	global_load_dwordx2 v[88:89], v[70:71], off offset:4032
	global_load_dwordx2 v[90:91], v[68:69], off offset:4080
	s_movk_i32 s0, 0x4000
	v_add_co_u32_e64 v133, s[0:1], s0, v72
	v_addc_co_u32_e64 v134, s[0:1], 0, v67, s[0:1]
	global_load_dwordx2 v[135:136], v[133:134], off offset:616
	global_load_dwordx2 v[146:147], v[133:134], off offset:1296
	;; [unrolled: 1-line block ×5, first 2 shown]
	s_movk_i32 s0, 0x5000
	global_load_dwordx2 v[133:134], v[133:134], off offset:4016
	ds_read2_b64 v[68:71], v139 offset1:85
	v_add_co_u32_e64 v154, s[0:1], s0, v72
	v_addc_co_u32_e64 v155, s[0:1], 0, v67, s[0:1]
	global_load_dwordx2 v[156:157], v[154:155], off offset:600
	global_load_dwordx2 v[158:159], v[154:155], off offset:1280
	s_waitcnt vmcnt(15) lgkmcnt(0)
	v_mul_f32_e32 v67, v69, v65
	v_fma_f32 v67, v68, v64, -v67
	v_mul_f32_e32 v68, v68, v65
	v_fmac_f32_e32 v68, v69, v64
	global_load_dwordx2 v[64:65], v[154:155], off offset:1960
	s_waitcnt vmcnt(15)
	v_mul_f32_e32 v69, v71, v75
	v_fma_f32 v69, v70, v74, -v69
	v_mul_f32_e32 v70, v70, v75
	v_fmac_f32_e32 v70, v71, v74
	ds_write2_b64 v139, v[67:68], v[69:70] offset1:85
	ds_read2_b64 v[67:70], v139 offset0:170 offset1:255
	s_waitcnt vmcnt(14) lgkmcnt(0)
	v_mul_f32_e32 v71, v68, v77
	v_mul_f32_e32 v72, v67, v77
	v_fma_f32 v71, v67, v76, -v71
	v_fmac_f32_e32 v72, v68, v76
	ds_read2_b64 v[74:77], v79 offset0:84 offset1:169
	s_waitcnt vmcnt(13)
	v_mul_f32_e32 v67, v70, v83
	v_mul_f32_e32 v68, v69, v83
	v_fma_f32 v67, v69, v82, -v67
	v_fmac_f32_e32 v68, v70, v82
	ds_write2_b64 v139, v[71:72], v[67:68] offset0:170 offset1:255
	s_waitcnt vmcnt(12) lgkmcnt(1)
	v_mul_f32_e32 v67, v75, v85
	v_fma_f32 v71, v74, v84, -v67
	v_mul_f32_e32 v72, v74, v85
	ds_read2_b64 v[67:70], v66 offset0:126 offset1:211
	v_fmac_f32_e32 v72, v75, v84
	s_waitcnt vmcnt(11)
	v_mul_f32_e32 v74, v77, v87
	v_mul_f32_e32 v75, v76, v87
	v_fma_f32 v74, v76, v86, -v74
	v_fmac_f32_e32 v75, v77, v86
	ds_write2_b64 v79, v[71:72], v[74:75] offset0:84 offset1:169
	ds_read2_b64 v[74:77], v81 offset0:168 offset1:253
	s_waitcnt vmcnt(9) lgkmcnt(2)
	v_mul_f32_e32 v71, v68, v91
	v_mul_f32_e32 v72, v67, v91
	v_fma_f32 v71, v67, v90, -v71
	v_fmac_f32_e32 v72, v68, v90
	v_mul_f32_e32 v67, v70, v89
	v_mul_f32_e32 v68, v69, v89
	v_fma_f32 v67, v69, v88, -v67
	v_fmac_f32_e32 v68, v70, v88
	ds_write2_b64 v66, v[71:72], v[67:68] offset0:126 offset1:211
	s_waitcnt vmcnt(8) lgkmcnt(1)
	v_mul_f32_e32 v67, v75, v136
	v_fma_f32 v71, v74, v135, -v67
	v_mul_f32_e32 v72, v74, v136
	ds_read2_b64 v[67:70], v73 offset0:82 offset1:167
	v_fmac_f32_e32 v72, v75, v135
	s_waitcnt vmcnt(7)
	v_mul_f32_e32 v74, v77, v147
	v_mul_f32_e32 v75, v76, v147
	v_fma_f32 v74, v76, v146, -v74
	v_fmac_f32_e32 v75, v77, v146
	ds_write2_b64 v81, v[71:72], v[74:75] offset0:168 offset1:253
	ds_read2_b64 v[74:77], v137 offset0:124 offset1:209
	s_waitcnt vmcnt(6) lgkmcnt(2)
	v_mul_f32_e32 v71, v68, v149
	v_mul_f32_e32 v72, v67, v149
	v_fma_f32 v71, v67, v148, -v71
	v_fmac_f32_e32 v72, v68, v148
	s_waitcnt vmcnt(5)
	v_mul_f32_e32 v67, v70, v151
	v_mul_f32_e32 v68, v69, v151
	v_fma_f32 v67, v69, v150, -v67
	v_fmac_f32_e32 v68, v70, v150
	ds_write2_b64 v73, v[71:72], v[67:68] offset0:82 offset1:167
	s_waitcnt vmcnt(4) lgkmcnt(1)
	v_mul_f32_e32 v67, v75, v153
	v_fma_f32 v71, v74, v152, -v67
	ds_read2_b64 v[67:70], v80 offset0:166 offset1:251
	v_mul_f32_e32 v72, v74, v153
	v_fmac_f32_e32 v72, v75, v152
	s_waitcnt vmcnt(3)
	v_mul_f32_e32 v74, v77, v134
	v_mul_f32_e32 v75, v76, v134
	v_fma_f32 v74, v76, v133, -v74
	v_fmac_f32_e32 v75, v77, v133
	ds_write2_b64 v137, v[71:72], v[74:75] offset0:124 offset1:209
	s_waitcnt vmcnt(2) lgkmcnt(1)
	v_mul_f32_e32 v71, v68, v157
	v_mul_f32_e32 v72, v67, v157
	v_fma_f32 v71, v67, v156, -v71
	v_fmac_f32_e32 v72, v68, v156
	ds_read_b64 v[67:68], v139 offset:10880
	s_waitcnt vmcnt(1)
	v_mul_f32_e32 v74, v70, v159
	v_mul_f32_e32 v75, v69, v159
	v_fma_f32 v74, v69, v158, -v74
	v_fmac_f32_e32 v75, v70, v158
	s_waitcnt vmcnt(0) lgkmcnt(0)
	v_mul_f32_e32 v69, v68, v65
	v_mul_f32_e32 v70, v67, v65
	v_fma_f32 v69, v67, v64, -v69
	v_fmac_f32_e32 v70, v68, v64
	ds_write2_b64 v80, v[71:72], v[74:75] offset0:166 offset1:251
	ds_write_b64 v139, v[69:70] offset:10880
	s_waitcnt lgkmcnt(0)
	s_barrier
	ds_read2_b64 v[82:85], v139 offset1:85
	ds_read2_b64 v[86:89], v139 offset0:170 offset1:255
	ds_read2_b64 v[133:136], v79 offset0:84 offset1:169
	ds_read2_b64 v[68:71], v66 offset0:126 offset1:211
	ds_read2_b64 v[64:67], v81 offset0:168 offset1:253
	ds_read2_b64 v[72:75], v73 offset0:82 offset1:167
	ds_read2_b64 v[146:149], v137 offset0:124 offset1:209
	ds_read2_b64 v[150:153], v80 offset0:166 offset1:251
	ds_read_b64 v[90:91], v139 offset:10880
	s_waitcnt lgkmcnt(8)
	v_add_f32_e32 v76, v82, v84
	v_add_f32_e32 v77, v83, v85
	s_waitcnt lgkmcnt(7)
	v_add_f32_e32 v76, v76, v86
	v_add_f32_e32 v77, v77, v87
	v_add_f32_e32 v76, v76, v88
	v_add_f32_e32 v77, v77, v89
	s_waitcnt lgkmcnt(6)
	v_add_f32_e32 v76, v76, v133
	v_add_f32_e32 v77, v77, v134
	;; [unrolled: 5-line block ×7, first 2 shown]
	v_add_f32_e32 v76, v76, v152
	s_waitcnt lgkmcnt(0)
	v_add_f32_e32 v154, v91, v85
	v_sub_f32_e32 v85, v85, v91
	v_add_f32_e32 v77, v77, v153
	v_add_f32_e32 v76, v76, v90
	;; [unrolled: 1-line block ×3, first 2 shown]
	v_sub_f32_e32 v84, v84, v90
	v_mul_f32_e32 v90, 0xbeb8f4ab, v85
	v_mul_f32_e32 v157, 0xbf2c7751, v85
	;; [unrolled: 1-line block ×8, first 2 shown]
	v_add_f32_e32 v77, v77, v91
	v_mov_b32_e32 v91, v90
	v_mov_b32_e32 v158, v157
	;; [unrolled: 1-line block ×8, first 2 shown]
	v_fmac_f32_e32 v91, 0x3f6eb680, v138
	v_fma_f32 v90, v138, s12, -v90
	v_fmac_f32_e32 v158, 0x3f3d2fb0, v138
	v_fma_f32 v157, v138, s6, -v157
	;; [unrolled: 2-line block ×8, first 2 shown]
	v_add_f32_e32 v91, v82, v91
	v_mul_f32_e32 v155, 0x3f6eb680, v154
	v_add_f32_e32 v90, v82, v90
	v_add_f32_e32 v158, v82, v158
	v_mul_f32_e32 v159, 0x3f3d2fb0, v154
	v_add_f32_e32 v157, v82, v157
	;; [unrolled: 3-line block ×8, first 2 shown]
	v_add_f32_e32 v85, v153, v87
	v_sub_f32_e32 v87, v87, v153
	v_mov_b32_e32 v156, v155
	v_mov_b32_e32 v160, v159
	;; [unrolled: 1-line block ×8, first 2 shown]
	v_mul_f32_e32 v138, 0xbf2c7751, v87
	v_fmac_f32_e32 v156, 0x3eb8f4ab, v84
	v_fmac_f32_e32 v155, 0xbeb8f4ab, v84
	;; [unrolled: 1-line block ×16, first 2 shown]
	v_add_f32_e32 v84, v152, v86
	v_sub_f32_e32 v86, v86, v152
	v_mov_b32_e32 v152, v138
	v_fmac_f32_e32 v152, 0x3f3d2fb0, v84
	v_add_f32_e32 v91, v152, v91
	v_mul_f32_e32 v152, 0x3f3d2fb0, v85
	v_add_f32_e32 v155, v83, v155
	v_mov_b32_e32 v153, v152
	v_fma_f32 v138, v84, s6, -v138
	v_fmac_f32_e32 v152, 0xbf2c7751, v86
	v_add_f32_e32 v90, v138, v90
	v_add_f32_e32 v138, v152, v155
	v_mul_f32_e32 v152, 0xbf7ee86f, v87
	v_add_f32_e32 v156, v83, v156
	v_add_f32_e32 v160, v83, v160
	;; [unrolled: 1-line block ×15, first 2 shown]
	v_mov_b32_e32 v154, v152
	v_fma_f32 v152, v84, s4, -v152
	v_fmac_f32_e32 v153, 0x3f2c7751, v86
	v_fmac_f32_e32 v154, 0x3dbcf732, v84
	v_mul_f32_e32 v155, 0x3dbcf732, v85
	v_add_f32_e32 v152, v152, v157
	v_mul_f32_e32 v157, 0xbf4c4adb, v87
	v_add_f32_e32 v153, v153, v156
	v_add_f32_e32 v154, v154, v158
	v_mov_b32_e32 v156, v155
	v_fmac_f32_e32 v155, 0xbf7ee86f, v86
	v_mov_b32_e32 v158, v157
	v_fma_f32 v157, v84, s13, -v157
	v_fmac_f32_e32 v156, 0x3f7ee86f, v86
	v_add_f32_e32 v155, v155, v159
	v_fmac_f32_e32 v158, 0xbf1a4643, v84
	v_mul_f32_e32 v159, 0xbf1a4643, v85
	v_add_f32_e32 v157, v157, v161
	v_mul_f32_e32 v161, 0xbe3c28d5, v87
	v_add_f32_e32 v156, v156, v160
	v_add_f32_e32 v158, v158, v162
	v_mov_b32_e32 v160, v159
	v_fmac_f32_e32 v159, 0xbf4c4adb, v86
	v_mov_b32_e32 v162, v161
	v_fma_f32 v161, v84, s15, -v161
	v_fmac_f32_e32 v160, 0x3f4c4adb, v86
	v_add_f32_e32 v159, v159, v163
	;; [unrolled: 12-line block ×4, first 2 shown]
	v_fmac_f32_e32 v170, 0xbe8c1d8e, v84
	v_mul_f32_e32 v171, 0xbe8c1d8e, v85
	v_add_f32_e32 v169, v169, v173
	v_mul_f32_e32 v173, 0x3f65296c, v87
	v_add_f32_e32 v168, v168, v172
	v_add_f32_e32 v170, v170, v174
	v_mov_b32_e32 v172, v171
	v_fmac_f32_e32 v171, 0x3f763a35, v86
	v_mov_b32_e32 v174, v173
	v_fma_f32 v173, v84, s5, -v173
	v_mul_f32_e32 v87, 0x3eb8f4ab, v87
	v_fmac_f32_e32 v172, 0xbf763a35, v86
	v_add_f32_e32 v171, v171, v175
	v_fmac_f32_e32 v174, 0x3ee437d1, v84
	v_mul_f32_e32 v175, 0x3ee437d1, v85
	v_add_f32_e32 v173, v173, v177
	v_mov_b32_e32 v177, v87
	v_mul_f32_e32 v85, 0x3f6eb680, v85
	v_add_f32_e32 v172, v172, v176
	v_add_f32_e32 v174, v174, v178
	v_mov_b32_e32 v176, v175
	v_fmac_f32_e32 v177, 0x3f6eb680, v84
	v_mov_b32_e32 v178, v85
	v_fma_f32 v84, v84, s12, -v87
	v_sub_f32_e32 v87, v89, v151
	v_fmac_f32_e32 v176, 0xbf65296c, v86
	v_fmac_f32_e32 v175, 0x3f65296c, v86
	;; [unrolled: 1-line block ×3, first 2 shown]
	v_add_f32_e32 v82, v84, v82
	v_fmac_f32_e32 v85, 0x3eb8f4ab, v86
	v_add_f32_e32 v84, v150, v88
	v_sub_f32_e32 v86, v88, v150
	v_mul_f32_e32 v88, 0xbf65296c, v87
	v_add_f32_e32 v83, v85, v83
	v_add_f32_e32 v85, v151, v89
	v_mov_b32_e32 v89, v88
	v_fmac_f32_e32 v89, 0x3ee437d1, v84
	v_add_f32_e32 v89, v89, v91
	v_mul_f32_e32 v91, 0x3ee437d1, v85
	v_mov_b32_e32 v150, v91
	v_fma_f32 v88, v84, s5, -v88
	v_fmac_f32_e32 v91, 0xbf65296c, v86
	v_add_f32_e32 v88, v88, v90
	v_add_f32_e32 v90, v91, v138
	v_mul_f32_e32 v91, 0xbf4c4adb, v87
	v_mov_b32_e32 v138, v91
	v_fma_f32 v91, v84, s13, -v91
	v_fmac_f32_e32 v150, 0x3f65296c, v86
	v_fmac_f32_e32 v138, 0xbf1a4643, v84
	v_mul_f32_e32 v151, 0xbf1a4643, v85
	v_add_f32_e32 v91, v91, v152
	v_mul_f32_e32 v152, 0x3e3c28d5, v87
	v_add_f32_e32 v150, v150, v153
	v_add_f32_e32 v138, v138, v154
	v_mov_b32_e32 v153, v151
	v_fmac_f32_e32 v151, 0xbf4c4adb, v86
	v_mov_b32_e32 v154, v152
	v_fma_f32 v152, v84, s15, -v152
	v_fmac_f32_e32 v153, 0x3f4c4adb, v86
	v_add_f32_e32 v151, v151, v155
	v_fmac_f32_e32 v154, 0xbf7ba420, v84
	v_mul_f32_e32 v155, 0xbf7ba420, v85
	v_add_f32_e32 v152, v152, v157
	v_mul_f32_e32 v157, 0x3f763a35, v87
	v_add_f32_e32 v153, v153, v156
	v_add_f32_e32 v154, v154, v158
	v_mov_b32_e32 v156, v155
	v_fmac_f32_e32 v155, 0x3e3c28d5, v86
	v_mov_b32_e32 v158, v157
	v_fma_f32 v157, v84, s7, -v157
	v_fmac_f32_e32 v156, 0xbe3c28d5, v86
	v_add_f32_e32 v155, v155, v159
	;; [unrolled: 12-line block ×4, first 2 shown]
	v_fmac_f32_e32 v166, 0x3f6eb680, v84
	v_mul_f32_e32 v167, 0x3f6eb680, v85
	v_add_f32_e32 v165, v165, v169
	v_mul_f32_e32 v169, 0xbf7ee86f, v87
	v_add_f32_e32 v164, v164, v168
	v_add_f32_e32 v166, v166, v170
	v_mov_b32_e32 v168, v167
	v_fmac_f32_e32 v167, 0xbeb8f4ab, v86
	v_mov_b32_e32 v170, v169
	v_fma_f32 v169, v84, s4, -v169
	v_mul_f32_e32 v87, 0xbf06c442, v87
	v_fmac_f32_e32 v168, 0x3eb8f4ab, v86
	v_add_f32_e32 v167, v167, v171
	v_fmac_f32_e32 v170, 0x3dbcf732, v84
	v_mul_f32_e32 v171, 0x3dbcf732, v85
	v_add_f32_e32 v169, v169, v173
	v_mov_b32_e32 v173, v87
	v_mul_f32_e32 v85, 0xbf59a7d5, v85
	v_add_f32_e32 v168, v168, v172
	v_add_f32_e32 v170, v170, v174
	v_mov_b32_e32 v172, v171
	v_fmac_f32_e32 v173, 0xbf59a7d5, v84
	v_mov_b32_e32 v174, v85
	v_fma_f32 v84, v84, s14, -v87
	v_sub_f32_e32 v87, v134, v149
	v_fmac_f32_e32 v172, 0x3f7ee86f, v86
	v_fmac_f32_e32 v171, 0xbf7ee86f, v86
	;; [unrolled: 1-line block ×3, first 2 shown]
	v_add_f32_e32 v82, v84, v82
	v_fmac_f32_e32 v85, 0xbf06c442, v86
	v_add_f32_e32 v84, v148, v133
	v_sub_f32_e32 v86, v133, v148
	v_mul_f32_e32 v133, 0xbf7ee86f, v87
	v_add_f32_e32 v83, v85, v83
	v_add_f32_e32 v85, v149, v134
	v_mov_b32_e32 v134, v133
	v_fmac_f32_e32 v134, 0x3dbcf732, v84
	v_add_f32_e32 v89, v134, v89
	v_mul_f32_e32 v134, 0x3dbcf732, v85
	v_fma_f32 v133, v84, s4, -v133
	v_mov_b32_e32 v148, v134
	v_add_f32_e32 v88, v133, v88
	v_fmac_f32_e32 v134, 0xbf7ee86f, v86
	v_mul_f32_e32 v133, 0xbe3c28d5, v87
	v_add_f32_e32 v90, v134, v90
	v_mov_b32_e32 v134, v133
	v_fmac_f32_e32 v134, 0xbf7ba420, v84
	v_add_f32_e32 v134, v134, v138
	v_mul_f32_e32 v138, 0xbf7ba420, v85
	v_mov_b32_e32 v149, v138
	v_fma_f32 v133, v84, s15, -v133
	v_fmac_f32_e32 v138, 0xbe3c28d5, v86
	v_fmac_f32_e32 v148, 0x3f7ee86f, v86
	v_add_f32_e32 v91, v133, v91
	v_add_f32_e32 v133, v138, v151
	v_mul_f32_e32 v138, 0x3f763a35, v87
	v_add_f32_e32 v148, v148, v150
	v_mov_b32_e32 v150, v138
	v_fma_f32 v138, v84, s7, -v138
	v_fmac_f32_e32 v149, 0x3e3c28d5, v86
	v_fmac_f32_e32 v150, 0xbe8c1d8e, v84
	v_mul_f32_e32 v151, 0xbe8c1d8e, v85
	v_add_f32_e32 v138, v138, v152
	v_mul_f32_e32 v152, 0x3eb8f4ab, v87
	v_add_f32_e32 v149, v149, v153
	v_add_f32_e32 v150, v150, v154
	v_mov_b32_e32 v153, v151
	v_fmac_f32_e32 v151, 0x3f763a35, v86
	v_mov_b32_e32 v154, v152
	v_fma_f32 v152, v84, s12, -v152
	v_fmac_f32_e32 v153, 0xbf763a35, v86
	v_add_f32_e32 v151, v151, v155
	v_fmac_f32_e32 v154, 0x3f6eb680, v84
	v_mul_f32_e32 v155, 0x3f6eb680, v85
	v_add_f32_e32 v152, v152, v157
	v_mul_f32_e32 v157, 0xbf65296c, v87
	v_add_f32_e32 v153, v153, v156
	v_add_f32_e32 v154, v154, v158
	v_mov_b32_e32 v156, v155
	v_fmac_f32_e32 v155, 0x3eb8f4ab, v86
	v_mov_b32_e32 v158, v157
	v_fma_f32 v157, v84, s5, -v157
	v_fmac_f32_e32 v156, 0xbeb8f4ab, v86
	v_add_f32_e32 v155, v155, v159
	;; [unrolled: 12-line block ×3, first 2 shown]
	v_fmac_f32_e32 v162, 0xbf59a7d5, v84
	v_mul_f32_e32 v163, 0xbf59a7d5, v85
	v_add_f32_e32 v161, v161, v165
	v_mul_f32_e32 v165, 0x3f4c4adb, v87
	v_add_f32_e32 v160, v160, v164
	v_add_f32_e32 v162, v162, v166
	v_mov_b32_e32 v164, v163
	v_fmac_f32_e32 v163, 0xbf06c442, v86
	v_mov_b32_e32 v166, v165
	v_fma_f32 v165, v84, s13, -v165
	v_mul_f32_e32 v87, 0x3f2c7751, v87
	v_fmac_f32_e32 v164, 0x3f06c442, v86
	v_add_f32_e32 v163, v163, v167
	v_fmac_f32_e32 v166, 0xbf1a4643, v84
	v_mul_f32_e32 v167, 0xbf1a4643, v85
	v_add_f32_e32 v165, v165, v169
	v_mov_b32_e32 v169, v87
	v_mul_f32_e32 v85, 0x3f3d2fb0, v85
	v_add_f32_e32 v164, v164, v168
	v_add_f32_e32 v166, v166, v170
	v_mov_b32_e32 v168, v167
	v_fmac_f32_e32 v169, 0x3f3d2fb0, v84
	v_mov_b32_e32 v170, v85
	v_fma_f32 v84, v84, s6, -v87
	v_sub_f32_e32 v87, v136, v147
	v_fmac_f32_e32 v168, 0xbf4c4adb, v86
	v_fmac_f32_e32 v167, 0x3f4c4adb, v86
	;; [unrolled: 1-line block ×3, first 2 shown]
	v_add_f32_e32 v82, v84, v82
	v_fmac_f32_e32 v85, 0x3f2c7751, v86
	v_add_f32_e32 v84, v146, v135
	v_sub_f32_e32 v86, v135, v146
	v_mul_f32_e32 v135, 0xbf763a35, v87
	v_add_f32_e32 v83, v85, v83
	v_add_f32_e32 v85, v147, v136
	v_mov_b32_e32 v136, v135
	v_fmac_f32_e32 v136, 0xbe8c1d8e, v84
	v_add_f32_e32 v89, v136, v89
	v_mul_f32_e32 v136, 0xbe8c1d8e, v85
	v_fma_f32 v135, v84, s7, -v135
	v_mov_b32_e32 v146, v136
	v_add_f32_e32 v88, v135, v88
	v_fmac_f32_e32 v136, 0xbf763a35, v86
	v_mul_f32_e32 v135, 0x3f06c442, v87
	v_add_f32_e32 v90, v136, v90
	v_mov_b32_e32 v136, v135
	v_fmac_f32_e32 v136, 0xbf59a7d5, v84
	v_add_f32_e32 v134, v136, v134
	v_mul_f32_e32 v136, 0xbf59a7d5, v85
	v_fmac_f32_e32 v146, 0x3f763a35, v86
	v_mov_b32_e32 v147, v136
	v_fma_f32 v135, v84, s14, -v135
	v_add_f32_e32 v146, v146, v148
	v_fmac_f32_e32 v147, 0xbf06c442, v86
	v_add_f32_e32 v91, v135, v91
	v_fmac_f32_e32 v136, 0x3f06c442, v86
	v_mul_f32_e32 v135, 0x3f2c7751, v87
	v_mul_f32_e32 v148, 0x3f3d2fb0, v85
	v_add_f32_e32 v147, v147, v149
	v_add_f32_e32 v133, v136, v133
	v_mov_b32_e32 v136, v135
	v_mov_b32_e32 v149, v148
	v_fma_f32 v135, v84, s6, -v135
	v_fmac_f32_e32 v148, 0x3f2c7751, v86
	v_fmac_f32_e32 v136, 0x3f3d2fb0, v84
	v_add_f32_e32 v135, v135, v138
	v_add_f32_e32 v138, v148, v151
	v_mul_f32_e32 v148, 0xbf65296c, v87
	v_add_f32_e32 v136, v136, v150
	v_mov_b32_e32 v150, v148
	v_fma_f32 v148, v84, s5, -v148
	v_fmac_f32_e32 v149, 0xbf2c7751, v86
	v_fmac_f32_e32 v150, 0x3ee437d1, v84
	v_mul_f32_e32 v151, 0x3ee437d1, v85
	v_add_f32_e32 v148, v148, v152
	v_mul_f32_e32 v152, 0xbe3c28d5, v87
	v_add_f32_e32 v149, v149, v153
	v_add_f32_e32 v150, v150, v154
	v_mov_b32_e32 v153, v151
	v_fmac_f32_e32 v151, 0xbf65296c, v86
	v_mov_b32_e32 v154, v152
	v_fma_f32 v152, v84, s15, -v152
	v_fmac_f32_e32 v153, 0x3f65296c, v86
	v_add_f32_e32 v151, v151, v155
	v_fmac_f32_e32 v154, 0xbf7ba420, v84
	v_mul_f32_e32 v155, 0xbf7ba420, v85
	v_add_f32_e32 v152, v152, v157
	v_mul_f32_e32 v157, 0x3f7ee86f, v87
	v_add_f32_e32 v153, v153, v156
	v_add_f32_e32 v154, v154, v158
	v_mov_b32_e32 v156, v155
	v_fmac_f32_e32 v155, 0xbe3c28d5, v86
	v_mov_b32_e32 v158, v157
	v_fma_f32 v157, v84, s4, -v157
	v_fmac_f32_e32 v156, 0x3e3c28d5, v86
	v_add_f32_e32 v155, v155, v159
	v_fmac_f32_e32 v158, 0x3dbcf732, v84
	v_mul_f32_e32 v159, 0x3dbcf732, v85
	v_add_f32_e32 v157, v157, v161
	v_mul_f32_e32 v161, 0xbeb8f4ab, v87
	v_add_f32_e32 v156, v156, v160
	v_add_f32_e32 v158, v158, v162
	v_mov_b32_e32 v160, v159
	v_fmac_f32_e32 v159, 0x3f7ee86f, v86
	v_mov_b32_e32 v162, v161
	v_add_f32_e32 v159, v159, v163
	v_fmac_f32_e32 v162, 0x3f6eb680, v84
	v_mul_f32_e32 v163, 0x3f6eb680, v85
	v_fma_f32 v161, v84, s12, -v161
	v_mul_f32_e32 v87, 0xbf4c4adb, v87
	v_mul_f32_e32 v85, 0xbf1a4643, v85
	v_add_f32_e32 v162, v162, v166
	v_add_f32_e32 v161, v161, v165
	v_mov_b32_e32 v165, v87
	v_mov_b32_e32 v166, v85
	v_fmac_f32_e32 v85, 0xbf4c4adb, v86
	v_fmac_f32_e32 v165, 0xbf1a4643, v84
	v_fma_f32 v84, v84, s13, -v87
	v_add_f32_e32 v83, v85, v83
	v_add_f32_e32 v85, v75, v69
	v_sub_f32_e32 v69, v69, v75
	v_fmac_f32_e32 v160, 0xbf7ee86f, v86
	v_add_f32_e32 v82, v84, v82
	v_add_f32_e32 v84, v74, v68
	v_sub_f32_e32 v68, v68, v74
	v_mul_f32_e32 v74, 0xbf4c4adb, v69
	v_add_f32_e32 v160, v160, v164
	v_mov_b32_e32 v164, v163
	v_mov_b32_e32 v75, v74
	v_fma_f32 v74, v84, s13, -v74
	v_fmac_f32_e32 v164, 0x3eb8f4ab, v86
	v_fmac_f32_e32 v163, 0xbeb8f4ab, v86
	;; [unrolled: 1-line block ×4, first 2 shown]
	v_mul_f32_e32 v86, 0xbf1a4643, v85
	v_add_f32_e32 v74, v74, v88
	v_mul_f32_e32 v88, 0x3f763a35, v69
	v_add_f32_e32 v75, v75, v89
	v_mov_b32_e32 v87, v86
	v_fmac_f32_e32 v86, 0xbf4c4adb, v68
	v_mov_b32_e32 v89, v88
	v_add_f32_e32 v86, v86, v90
	v_fmac_f32_e32 v89, 0xbe8c1d8e, v84
	v_mul_f32_e32 v90, 0xbe8c1d8e, v85
	v_fma_f32 v88, v84, s7, -v88
	v_add_f32_e32 v89, v89, v134
	v_mov_b32_e32 v134, v90
	v_add_f32_e32 v88, v88, v91
	v_fmac_f32_e32 v90, 0x3f763a35, v68
	v_mul_f32_e32 v91, 0xbeb8f4ab, v69
	v_add_f32_e32 v90, v90, v133
	v_mov_b32_e32 v133, v91
	v_fmac_f32_e32 v133, 0x3f6eb680, v84
	v_fmac_f32_e32 v87, 0x3f4c4adb, v68
	v_add_f32_e32 v133, v133, v136
	v_mul_f32_e32 v136, 0x3f6eb680, v85
	v_add_f32_e32 v87, v87, v146
	v_mov_b32_e32 v146, v136
	v_fma_f32 v91, v84, s12, -v91
	v_fmac_f32_e32 v136, 0xbeb8f4ab, v68
	v_add_f32_e32 v91, v91, v135
	v_add_f32_e32 v135, v136, v138
	v_mul_f32_e32 v136, 0xbf06c442, v69
	v_fmac_f32_e32 v134, 0xbf763a35, v68
	v_mov_b32_e32 v138, v136
	v_fma_f32 v136, v84, s14, -v136
	v_add_f32_e32 v134, v134, v147
	v_fmac_f32_e32 v146, 0x3eb8f4ab, v68
	v_fmac_f32_e32 v138, 0xbf59a7d5, v84
	v_mul_f32_e32 v147, 0xbf59a7d5, v85
	v_add_f32_e32 v136, v136, v148
	v_mul_f32_e32 v148, 0x3f7ee86f, v69
	v_add_f32_e32 v146, v146, v149
	v_add_f32_e32 v138, v138, v150
	v_mov_b32_e32 v149, v147
	v_fmac_f32_e32 v147, 0xbf06c442, v68
	v_mov_b32_e32 v150, v148
	v_fma_f32 v148, v84, s4, -v148
	v_fmac_f32_e32 v149, 0x3f06c442, v68
	v_add_f32_e32 v147, v147, v151
	v_fmac_f32_e32 v150, 0x3dbcf732, v84
	v_mul_f32_e32 v151, 0x3dbcf732, v85
	v_add_f32_e32 v148, v148, v152
	v_mul_f32_e32 v152, 0xbf2c7751, v69
	v_add_f32_e32 v149, v149, v153
	v_add_f32_e32 v150, v150, v154
	v_mov_b32_e32 v153, v151
	v_fmac_f32_e32 v151, 0x3f7ee86f, v68
	v_mov_b32_e32 v154, v152
	v_fma_f32 v152, v84, s6, -v152
	v_fmac_f32_e32 v153, 0xbf7ee86f, v68
	v_add_f32_e32 v151, v151, v155
	v_fmac_f32_e32 v154, 0x3f3d2fb0, v84
	v_mul_f32_e32 v155, 0x3f3d2fb0, v85
	v_add_f32_e32 v152, v152, v157
	v_mul_f32_e32 v157, 0xbe3c28d5, v69
	v_add_f32_e32 v153, v153, v156
	v_add_f32_e32 v154, v154, v158
	v_mov_b32_e32 v156, v155
	v_fmac_f32_e32 v155, 0xbf2c7751, v68
	v_mov_b32_e32 v158, v157
	v_fmac_f32_e32 v156, 0x3f2c7751, v68
	v_add_f32_e32 v155, v155, v159
	v_fmac_f32_e32 v158, 0xbf7ba420, v84
	v_mul_f32_e32 v159, 0xbf7ba420, v85
	v_mul_f32_e32 v85, 0x3ee437d1, v85
	v_add_f32_e32 v156, v156, v160
	v_add_f32_e32 v158, v158, v162
	v_mov_b32_e32 v160, v159
	v_fma_f32 v157, v84, s15, -v157
	v_mul_f32_e32 v69, 0x3f65296c, v69
	v_mov_b32_e32 v162, v85
	v_fmac_f32_e32 v85, 0x3f65296c, v68
	v_fmac_f32_e32 v160, 0x3e3c28d5, v68
	v_add_f32_e32 v157, v157, v161
	v_fmac_f32_e32 v159, 0xbe3c28d5, v68
	v_mov_b32_e32 v161, v69
	v_fmac_f32_e32 v162, 0xbf65296c, v68
	v_fma_f32 v69, v84, s5, -v69
	v_add_f32_e32 v68, v85, v83
	v_add_f32_e32 v83, v73, v71
	v_sub_f32_e32 v71, v71, v73
	v_add_f32_e32 v69, v69, v82
	v_add_f32_e32 v82, v72, v70
	v_sub_f32_e32 v70, v70, v72
	v_mul_f32_e32 v72, 0xbf06c442, v71
	v_mov_b32_e32 v73, v72
	v_fmac_f32_e32 v73, 0xbf59a7d5, v82
	v_add_f32_e32 v73, v73, v75
	v_mul_f32_e32 v75, 0xbf59a7d5, v83
	v_fmac_f32_e32 v161, 0x3ee437d1, v84
	v_mov_b32_e32 v84, v75
	v_fma_f32 v72, v82, s14, -v72
	v_fmac_f32_e32 v75, 0xbf06c442, v70
	v_add_f32_e32 v72, v72, v74
	v_add_f32_e32 v74, v75, v86
	v_mul_f32_e32 v75, 0x3f65296c, v71
	v_mov_b32_e32 v85, v75
	v_fma_f32 v75, v82, s5, -v75
	v_fmac_f32_e32 v84, 0x3f06c442, v70
	v_fmac_f32_e32 v85, 0x3ee437d1, v82
	v_mul_f32_e32 v86, 0x3ee437d1, v83
	v_add_f32_e32 v75, v75, v88
	v_mul_f32_e32 v88, 0xbf7ee86f, v71
	v_add_f32_e32 v84, v84, v87
	v_add_f32_e32 v85, v85, v89
	v_mov_b32_e32 v87, v86
	v_fmac_f32_e32 v86, 0x3f65296c, v70
	v_mov_b32_e32 v89, v88
	v_add_f32_e32 v86, v86, v90
	v_fmac_f32_e32 v89, 0x3dbcf732, v82
	v_mul_f32_e32 v90, 0x3dbcf732, v83
	v_add_f32_e32 v89, v89, v133
	v_mov_b32_e32 v133, v90
	v_fma_f32 v88, v82, s4, -v88
	v_fmac_f32_e32 v133, 0x3f7ee86f, v70
	v_add_f32_e32 v88, v88, v91
	v_mul_f32_e32 v91, 0x3f4c4adb, v71
	v_add_f32_e32 v146, v133, v146
	v_mov_b32_e32 v133, v91
	v_fmac_f32_e32 v133, 0xbf1a4643, v82
	v_fmac_f32_e32 v87, 0xbf65296c, v70
	v_add_f32_e32 v138, v133, v138
	v_mul_f32_e32 v133, 0xbf1a4643, v83
	v_add_f32_e32 v87, v87, v134
	v_mov_b32_e32 v134, v133
	v_fmac_f32_e32 v133, 0x3f4c4adb, v70
	;; [unrolled: 6-line block ×3, first 2 shown]
	v_fmac_f32_e32 v90, 0xbf7ee86f, v70
	v_add_f32_e32 v150, v134, v150
	v_mul_f32_e32 v134, 0x3f6eb680, v83
	v_fma_f32 v133, v82, s12, -v133
	v_add_f32_e32 v90, v90, v135
	v_mov_b32_e32 v135, v134
	v_add_f32_e32 v148, v133, v148
	v_fmac_f32_e32 v134, 0xbeb8f4ab, v70
	v_mul_f32_e32 v133, 0xbe3c28d5, v71
	v_add_f32_e32 v151, v134, v151
	v_mov_b32_e32 v134, v133
	v_add_f32_e32 v178, v178, v182
	v_fmac_f32_e32 v134, 0xbf7ba420, v82
	v_add_f32_e32 v177, v177, v181
	v_add_f32_e32 v174, v174, v178
	v_fmac_f32_e32 v135, 0x3eb8f4ab, v70
	v_add_f32_e32 v154, v134, v154
	v_mul_f32_e32 v134, 0xbf7ba420, v83
	v_fma_f32 v133, v82, s15, -v133
	v_add_f32_e32 v176, v176, v180
	v_add_f32_e32 v175, v175, v179
	;; [unrolled: 1-line block ×5, first 2 shown]
	v_mov_b32_e32 v135, v134
	v_add_f32_e32 v152, v133, v152
	v_fmac_f32_e32 v134, 0xbe3c28d5, v70
	v_mul_f32_e32 v133, 0x3f2c7751, v71
	v_add_f32_e32 v172, v172, v176
	v_add_f32_e32 v171, v171, v175
	v_add_f32_e32 v169, v169, v173
	v_add_f32_e32 v166, v166, v170
	v_add_f32_e32 v155, v134, v155
	v_mov_b32_e32 v134, v133
	v_fma_f32 v133, v82, s6, -v133
	v_mul_f32_e32 v71, 0xbf763a35, v71
	v_add_f32_e32 v168, v168, v172
	v_add_f32_e32 v167, v167, v171
	;; [unrolled: 1-line block ×4, first 2 shown]
	v_fmac_f32_e32 v134, 0x3f3d2fb0, v82
	v_add_f32_e32 v157, v133, v157
	v_mov_b32_e32 v133, v71
	v_add_f32_e32 v166, v67, v65
	v_add_f32_e32 v164, v164, v168
	;; [unrolled: 1-line block ×4, first 2 shown]
	v_fmac_f32_e32 v135, 0x3e3c28d5, v70
	v_add_f32_e32 v158, v134, v158
	v_mul_f32_e32 v134, 0x3f3d2fb0, v83
	v_fmac_f32_e32 v133, 0xbe8c1d8e, v82
	v_mul_f32_e32 v83, 0xbe8c1d8e, v83
	v_sub_f32_e32 v167, v64, v66
	v_sub_f32_e32 v168, v65, v67
	v_mul_f32_e32 v67, 0xbf7ba420, v166
	v_fma_f32 v91, v82, s13, -v91
	v_add_f32_e32 v156, v135, v156
	v_mov_b32_e32 v135, v134
	v_add_f32_e32 v161, v133, v161
	v_mov_b32_e32 v133, v83
	v_fmac_f32_e32 v83, 0xbf763a35, v70
	v_add_f32_e32 v165, v66, v64
	v_mul_f32_e32 v66, 0xbe3c28d5, v168
	v_mov_b32_e32 v65, v67
	v_fmac_f32_e32 v67, 0xbe3c28d5, v167
	v_add_f32_e32 v160, v160, v164
	v_add_f32_e32 v91, v91, v136
	v_fmac_f32_e32 v135, 0xbf2c7751, v70
	v_fma_f32 v71, v82, s7, -v71
	v_add_f32_e32 v164, v83, v68
	v_mov_b32_e32 v64, v66
	v_fma_f32 v66, v165, s15, -v66
	v_add_f32_e32 v136, v67, v74
	v_mul_f32_e32 v68, 0x3eb8f4ab, v168
	v_mul_f32_e32 v74, 0x3f2c7751, v168
	v_add_f32_e32 v159, v159, v163
	v_add_f32_e32 v160, v135, v160
	;; [unrolled: 1-line block ×4, first 2 shown]
	v_mov_b32_e32 v66, v68
	v_mul_f32_e32 v69, 0x3f6eb680, v166
	v_mov_b32_e32 v72, v74
	v_fmac_f32_e32 v134, 0x3f2c7751, v70
	v_fmac_f32_e32 v133, 0x3f763a35, v70
	;; [unrolled: 1-line block ×3, first 2 shown]
	v_mov_b32_e32 v67, v69
	v_fma_f32 v68, v165, s12, -v68
	v_fmac_f32_e32 v69, 0x3eb8f4ab, v167
	v_mul_f32_e32 v70, 0xbf06c442, v168
	v_mul_f32_e32 v71, 0xbf59a7d5, v166
	v_fmac_f32_e32 v72, 0x3f3d2fb0, v165
	v_add_f32_e32 v159, v134, v159
	v_add_f32_e32 v162, v133, v162
	v_fmac_f32_e32 v64, 0xbf7ba420, v165
	v_fmac_f32_e32 v65, 0x3e3c28d5, v167
	v_add_f32_e32 v66, v66, v85
	v_add_f32_e32 v133, v68, v75
	;; [unrolled: 1-line block ×3, first 2 shown]
	v_mov_b32_e32 v68, v70
	v_mov_b32_e32 v69, v71
	v_fmac_f32_e32 v71, 0xbf06c442, v167
	v_add_f32_e32 v72, v72, v138
	v_mul_f32_e32 v75, 0x3f3d2fb0, v166
	v_mul_f32_e32 v85, 0xbf1a4643, v166
	;; [unrolled: 1-line block ×3, first 2 shown]
	v_add_f32_e32 v64, v64, v73
	v_add_f32_e32 v65, v65, v84
	v_fmac_f32_e32 v68, 0xbf59a7d5, v165
	v_fmac_f32_e32 v69, 0x3f06c442, v167
	v_fma_f32 v70, v165, s14, -v70
	v_add_f32_e32 v71, v71, v90
	v_mov_b32_e32 v73, v75
	v_fmac_f32_e32 v75, 0x3f2c7751, v167
	v_mul_f32_e32 v84, 0xbf4c4adb, v168
	v_mov_b32_e32 v83, v85
	v_fmac_f32_e32 v85, 0xbf4c4adb, v167
	v_mov_b32_e32 v90, v138
	v_fma_f32 v138, v165, s7, -v138
	v_fmac_f32_e32 v67, 0xbeb8f4ab, v167
	v_add_f32_e32 v68, v68, v89
	v_add_f32_e32 v69, v69, v146
	;; [unrolled: 1-line block ×3, first 2 shown]
	v_fmac_f32_e32 v73, 0xbf2c7751, v167
	v_fma_f32 v74, v165, s6, -v74
	v_add_f32_e32 v75, v75, v147
	v_mov_b32_e32 v82, v84
	v_fma_f32 v84, v165, s13, -v84
	v_add_f32_e32 v85, v85, v151
	v_mul_f32_e32 v88, 0x3f65296c, v168
	v_mul_f32_e32 v89, 0x3ee437d1, v166
	v_mul_f32_e32 v147, 0xbe8c1d8e, v166
	v_add_f32_e32 v146, v138, v157
	v_mul_f32_e32 v138, 0x3f7ee86f, v168
	v_mul_f32_e32 v151, 0x3dbcf732, v166
	v_add_f32_e32 v67, v67, v87
	v_add_f32_e32 v73, v73, v149
	;; [unrolled: 1-line block ×4, first 2 shown]
	v_mov_b32_e32 v86, v88
	v_mov_b32_e32 v87, v89
	;; [unrolled: 1-line block ×5, first 2 shown]
	v_fmac_f32_e32 v82, 0xbf1a4643, v165
	v_fmac_f32_e32 v83, 0x3f4c4adb, v167
	;; [unrolled: 1-line block ×4, first 2 shown]
	v_fma_f32 v88, v165, s5, -v88
	v_fmac_f32_e32 v89, 0x3f65296c, v167
	v_fmac_f32_e32 v90, 0xbe8c1d8e, v165
	;; [unrolled: 1-line block ×6, first 2 shown]
	v_fma_f32 v138, v165, s4, -v138
	v_fmac_f32_e32 v151, 0x3f7ee86f, v167
	v_add_f32_e32 v82, v82, v150
	v_add_f32_e32 v83, v83, v153
	;; [unrolled: 1-line block ×13, first 2 shown]
	s_barrier
	ds_write2_b64 v78, v[76:77], v[64:65] offset1:1
	ds_write2_b64 v78, v[66:67], v[68:69] offset0:2 offset1:3
	ds_write2_b64 v78, v[72:73], v[82:83] offset0:4 offset1:5
	;; [unrolled: 1-line block ×7, first 2 shown]
	ds_write_b64 v78, v[135:136] offset:128
	v_add_u32_e32 v64, 0x400, v139
	v_add_u32_e32 v72, 0x1400, v139
	s_waitcnt lgkmcnt(0)
	s_barrier
	ds_read2_b64 v[68:71], v139 offset1:85
	ds_read2_b64 v[64:67], v64 offset0:42 offset1:161
	ds_read2_b64 v[88:91], v81 offset0:66 offset1:151
	;; [unrolled: 1-line block ×6, first 2 shown]
	ds_read_b64 v[137:138], v139 offset:10608
	s_and_saveexec_b64 s[0:1], vcc
	s_cbranch_execz .LBB0_7
; %bb.6:
	ds_read_b64 v[133:134], v139 offset:2040
	ds_read_b64 v[135:136], v139 offset:4352
	;; [unrolled: 1-line block ×5, first 2 shown]
.LBB0_7:
	s_or_b64 exec, exec, s[0:1]
	s_waitcnt lgkmcnt(6)
	v_mul_f32_e32 v146, v17, v67
	v_mul_f32_e32 v17, v17, v66
	v_fmac_f32_e32 v146, v16, v66
	v_fma_f32 v66, v16, v67, -v17
	s_waitcnt lgkmcnt(5)
	v_mul_f32_e32 v17, v19, v89
	v_mul_f32_e32 v16, v19, v88
	s_waitcnt lgkmcnt(4)
	v_mul_f32_e32 v19, v9, v75
	v_mul_f32_e32 v9, v9, v74
	v_fmac_f32_e32 v19, v8, v74
	v_fma_f32 v67, v8, v75, -v9
	s_waitcnt lgkmcnt(3)
	v_mul_f32_e32 v74, v11, v85
	v_mul_f32_e32 v8, v11, v84
	v_fmac_f32_e32 v17, v18, v88
	v_fmac_f32_e32 v74, v10, v84
	v_fma_f32 v75, v10, v85, -v8
	s_waitcnt lgkmcnt(2)
	v_mul_f32_e32 v84, v25, v81
	v_mul_f32_e32 v8, v25, v80
	v_fmac_f32_e32 v84, v24, v80
	v_fma_f32 v80, v24, v81, -v8
	v_mul_f32_e32 v25, v27, v91
	v_mul_f32_e32 v8, v27, v90
	v_add_f32_e32 v9, v17, v19
	v_fmac_f32_e32 v25, v26, v90
	v_fma_f32 v26, v26, v91, -v8
	s_waitcnt lgkmcnt(1)
	v_mul_f32_e32 v27, v13, v77
	v_mul_f32_e32 v8, v13, v76
	v_fma_f32 v10, -0.5, v9, v68
	v_fma_f32 v18, v18, v89, -v16
	v_fmac_f32_e32 v27, v12, v76
	v_fma_f32 v76, v12, v77, -v8
	v_mul_f32_e32 v77, v15, v87
	v_mul_f32_e32 v8, v15, v86
	v_sub_f32_e32 v9, v66, v75
	v_mov_b32_e32 v12, v10
	v_fmac_f32_e32 v77, v14, v86
	v_fma_f32 v81, v14, v87, -v8
	v_fmac_f32_e32 v12, 0xbf737871, v9
	v_sub_f32_e32 v11, v18, v67
	v_sub_f32_e32 v13, v146, v17
	;; [unrolled: 1-line block ×3, first 2 shown]
	v_fmac_f32_e32 v10, 0x3f737871, v9
	v_fmac_f32_e32 v12, 0xbf167918, v11
	v_add_f32_e32 v13, v13, v14
	v_fmac_f32_e32 v10, 0x3f167918, v11
	v_mul_f32_e32 v85, v29, v83
	v_mul_f32_e32 v8, v29, v82
	v_fmac_f32_e32 v12, 0x3e9e377a, v13
	v_fmac_f32_e32 v10, 0x3e9e377a, v13
	v_add_f32_e32 v13, v146, v74
	v_fmac_f32_e32 v85, v28, v82
	v_fma_f32 v82, v28, v83, -v8
	v_mul_f32_e32 v83, v31, v73
	v_mul_f32_e32 v8, v31, v72
	v_fma_f32 v14, -0.5, v13, v68
	v_fmac_f32_e32 v83, v30, v72
	v_fma_f32 v72, v30, v73, -v8
	v_mul_f32_e32 v73, v21, v79
	v_mul_f32_e32 v8, v21, v78
	v_mov_b32_e32 v16, v14
	v_fmac_f32_e32 v73, v20, v78
	v_fma_f32 v78, v20, v79, -v8
	s_waitcnt lgkmcnt(0)
	v_mul_f32_e32 v8, v23, v137
	v_fmac_f32_e32 v16, 0x3f737871, v11
	v_sub_f32_e32 v13, v17, v146
	v_sub_f32_e32 v15, v19, v74
	v_fmac_f32_e32 v14, 0xbf737871, v11
	v_add_f32_e32 v11, v18, v67
	v_fma_f32 v79, v22, v138, -v8
	v_add_f32_e32 v8, v68, v146
	v_fmac_f32_e32 v16, 0xbf167918, v9
	v_add_f32_e32 v13, v13, v15
	v_fmac_f32_e32 v14, 0x3f167918, v9
	v_fma_f32 v11, -0.5, v11, v69
	v_add_f32_e32 v8, v8, v17
	v_fmac_f32_e32 v16, 0x3e9e377a, v13
	v_fmac_f32_e32 v14, 0x3e9e377a, v13
	v_sub_f32_e32 v20, v146, v74
	v_mov_b32_e32 v13, v11
	v_add_f32_e32 v8, v8, v19
	v_fmac_f32_e32 v13, 0x3f737871, v20
	v_sub_f32_e32 v19, v17, v19
	v_sub_f32_e32 v15, v66, v18
	;; [unrolled: 1-line block ×3, first 2 shown]
	v_fmac_f32_e32 v11, 0xbf737871, v20
	v_fmac_f32_e32 v13, 0x3f167918, v19
	v_add_f32_e32 v15, v15, v17
	v_fmac_f32_e32 v11, 0xbf167918, v19
	v_fmac_f32_e32 v13, 0x3e9e377a, v15
	;; [unrolled: 1-line block ×3, first 2 shown]
	v_add_f32_e32 v15, v66, v75
	v_fma_f32 v15, -0.5, v15, v69
	v_mov_b32_e32 v17, v15
	v_fmac_f32_e32 v17, 0xbf737871, v19
	v_fmac_f32_e32 v15, 0x3f737871, v19
	v_add_f32_e32 v19, v25, v27
	v_mul_f32_e32 v31, v23, v138
	v_add_f32_e32 v9, v69, v66
	v_fmac_f32_e32 v17, 0x3f167918, v20
	v_fmac_f32_e32 v15, 0xbf167918, v20
	v_fma_f32 v20, -0.5, v19, v70
	v_fmac_f32_e32 v31, v22, v137
	v_add_f32_e32 v9, v9, v18
	v_sub_f32_e32 v18, v18, v66
	v_sub_f32_e32 v21, v67, v75
	;; [unrolled: 1-line block ×3, first 2 shown]
	v_mov_b32_e32 v22, v20
	v_add_f32_e32 v18, v18, v21
	v_fmac_f32_e32 v22, 0xbf737871, v19
	v_sub_f32_e32 v21, v26, v76
	v_sub_f32_e32 v23, v84, v25
	;; [unrolled: 1-line block ×3, first 2 shown]
	v_fmac_f32_e32 v20, 0x3f737871, v19
	v_fmac_f32_e32 v22, 0xbf167918, v21
	v_add_f32_e32 v23, v23, v24
	v_fmac_f32_e32 v20, 0x3f167918, v21
	v_fmac_f32_e32 v22, 0x3e9e377a, v23
	;; [unrolled: 1-line block ×3, first 2 shown]
	v_add_f32_e32 v23, v84, v77
	v_fmac_f32_e32 v17, 0x3e9e377a, v18
	v_fmac_f32_e32 v15, 0x3e9e377a, v18
	v_add_f32_e32 v18, v70, v84
	v_fma_f32 v70, -0.5, v23, v70
	v_mov_b32_e32 v24, v70
	v_fmac_f32_e32 v24, 0x3f737871, v21
	v_sub_f32_e32 v23, v25, v84
	v_sub_f32_e32 v28, v27, v77
	v_fmac_f32_e32 v70, 0xbf737871, v21
	v_add_f32_e32 v21, v26, v76
	v_fmac_f32_e32 v24, 0xbf167918, v19
	v_add_f32_e32 v23, v23, v28
	v_fmac_f32_e32 v70, 0x3f167918, v19
	v_fma_f32 v21, -0.5, v21, v71
	v_add_f32_e32 v18, v18, v25
	v_fmac_f32_e32 v24, 0x3e9e377a, v23
	v_fmac_f32_e32 v70, 0x3e9e377a, v23
	v_sub_f32_e32 v28, v84, v77
	v_mov_b32_e32 v23, v21
	v_add_f32_e32 v18, v18, v27
	v_fmac_f32_e32 v23, 0x3f737871, v28
	v_sub_f32_e32 v27, v25, v27
	v_sub_f32_e32 v25, v80, v26
	;; [unrolled: 1-line block ×3, first 2 shown]
	v_fmac_f32_e32 v21, 0xbf737871, v28
	v_fmac_f32_e32 v23, 0x3f167918, v27
	v_add_f32_e32 v25, v25, v29
	v_fmac_f32_e32 v21, 0xbf167918, v27
	v_fmac_f32_e32 v23, 0x3e9e377a, v25
	;; [unrolled: 1-line block ×3, first 2 shown]
	v_add_f32_e32 v25, v80, v81
	v_add_f32_e32 v19, v71, v80
	v_fmac_f32_e32 v71, -0.5, v25
	v_mov_b32_e32 v25, v71
	v_fmac_f32_e32 v25, 0xbf737871, v27
	v_fmac_f32_e32 v71, 0x3f737871, v27
	v_add_f32_e32 v27, v83, v73
	v_fmac_f32_e32 v25, 0x3f167918, v28
	v_fmac_f32_e32 v71, 0xbf167918, v28
	v_fma_f32 v28, -0.5, v27, v64
	v_add_f32_e32 v19, v19, v26
	v_sub_f32_e32 v26, v26, v80
	v_sub_f32_e32 v29, v76, v81
	;; [unrolled: 1-line block ×3, first 2 shown]
	v_mov_b32_e32 v30, v28
	v_add_f32_e32 v9, v9, v67
	v_add_f32_e32 v26, v26, v29
	v_fmac_f32_e32 v30, 0xbf737871, v27
	v_sub_f32_e32 v29, v72, v78
	v_sub_f32_e32 v66, v85, v83
	;; [unrolled: 1-line block ×3, first 2 shown]
	v_fmac_f32_e32 v28, 0x3f737871, v27
	v_fmac_f32_e32 v30, 0xbf167918, v29
	v_add_f32_e32 v66, v66, v67
	v_fmac_f32_e32 v28, 0x3f167918, v29
	v_fmac_f32_e32 v30, 0x3e9e377a, v66
	;; [unrolled: 1-line block ×3, first 2 shown]
	v_add_f32_e32 v66, v85, v31
	v_fmac_f32_e32 v25, 0x3e9e377a, v26
	v_fmac_f32_e32 v71, 0x3e9e377a, v26
	v_add_f32_e32 v26, v64, v85
	v_fma_f32 v64, -0.5, v66, v64
	v_mov_b32_e32 v66, v64
	v_add_f32_e32 v26, v26, v83
	v_fmac_f32_e32 v66, 0x3f737871, v29
	v_fmac_f32_e32 v64, 0xbf737871, v29
	v_add_f32_e32 v29, v72, v78
	v_add_f32_e32 v26, v26, v73
	v_sub_f32_e32 v67, v83, v85
	v_sub_f32_e32 v68, v73, v31
	v_fma_f32 v29, -0.5, v29, v65
	v_add_f32_e32 v26, v26, v31
	v_fmac_f32_e32 v66, 0xbf167918, v27
	v_add_f32_e32 v67, v67, v68
	v_fmac_f32_e32 v64, 0x3f167918, v27
	v_sub_f32_e32 v68, v85, v31
	v_mov_b32_e32 v31, v29
	v_fmac_f32_e32 v66, 0x3e9e377a, v67
	v_fmac_f32_e32 v64, 0x3e9e377a, v67
	;; [unrolled: 1-line block ×3, first 2 shown]
	v_sub_f32_e32 v69, v83, v73
	v_sub_f32_e32 v67, v82, v72
	;; [unrolled: 1-line block ×3, first 2 shown]
	v_fmac_f32_e32 v29, 0xbf737871, v68
	v_fmac_f32_e32 v31, 0x3f167918, v69
	v_add_f32_e32 v67, v67, v73
	v_fmac_f32_e32 v29, 0xbf167918, v69
	v_fmac_f32_e32 v31, 0x3e9e377a, v67
	;; [unrolled: 1-line block ×3, first 2 shown]
	v_add_f32_e32 v67, v82, v79
	v_add_f32_e32 v27, v65, v82
	v_fmac_f32_e32 v65, -0.5, v67
	v_mov_b32_e32 v67, v65
	v_add_f32_e32 v27, v27, v72
	v_fmac_f32_e32 v67, 0xbf737871, v69
	v_sub_f32_e32 v72, v72, v82
	v_sub_f32_e32 v73, v78, v79
	v_fmac_f32_e32 v65, 0x3f737871, v69
	v_add_f32_e32 v8, v8, v74
	v_add_f32_e32 v9, v9, v75
	v_add_f32_e32 v19, v19, v76
	v_add_f32_e32 v27, v27, v78
	v_fmac_f32_e32 v67, 0x3f167918, v68
	v_add_f32_e32 v72, v72, v73
	v_fmac_f32_e32 v65, 0xbf167918, v68
	v_add_f32_e32 v18, v18, v77
	v_add_f32_e32 v19, v19, v81
	v_add_f32_e32 v27, v27, v79
	v_fmac_f32_e32 v67, 0x3e9e377a, v72
	v_fmac_f32_e32 v65, 0x3e9e377a, v72
	s_barrier
	ds_write2_b64 v143, v[8:9], v[12:13] offset1:17
	ds_write2_b64 v143, v[16:17], v[14:15] offset0:34 offset1:51
	ds_write_b64 v143, v[10:11] offset:544
	ds_write2_b64 v144, v[18:19], v[22:23] offset1:17
	ds_write2_b64 v144, v[24:25], v[70:71] offset0:34 offset1:51
	ds_write_b64 v144, v[20:21] offset:544
	;; [unrolled: 3-line block ×3, first 2 shown]
	s_and_saveexec_b64 s[0:1], vcc
	s_cbranch_execz .LBB0_9
; %bb.8:
	v_mul_f32_e32 v8, v7, v131
	v_mul_f32_e32 v10, v1, v129
	v_fma_f32 v9, v6, v132, -v8
	v_mul_f32_e32 v8, v5, v135
	v_fma_f32 v12, v0, v130, -v10
	;; [unrolled: 2-line block ×3, first 2 shown]
	v_fma_f32 v13, v2, v128, -v10
	v_mul_f32_e32 v14, v7, v132
	v_mul_f32_e32 v15, v1, v130
	v_add_f32_e32 v1, v11, v13
	v_mul_f32_e32 v16, v5, v136
	v_fmac_f32_e32 v14, v6, v131
	v_fmac_f32_e32 v15, v0, v129
	v_fma_f32 v1, -0.5, v1, v134
	v_fmac_f32_e32 v16, v4, v135
	v_mul_f32_e32 v4, v3, v128
	v_sub_f32_e32 v0, v14, v15
	v_mov_b32_e32 v6, v1
	v_fmac_f32_e32 v4, v2, v127
	v_sub_f32_e32 v3, v11, v9
	v_sub_f32_e32 v5, v13, v12
	;; [unrolled: 1-line block ×4, first 2 shown]
	v_fmac_f32_e32 v6, 0x3f737871, v0
	v_sub_f32_e32 v2, v16, v4
	v_fmac_f32_e32 v1, 0xbf737871, v0
	v_add_f32_e32 v5, v3, v5
	v_add_f32_e32 v3, v9, v12
	;; [unrolled: 1-line block ×3, first 2 shown]
	v_fmac_f32_e32 v6, 0xbf167918, v2
	v_fmac_f32_e32 v1, 0x3f167918, v2
	v_fma_f32 v3, -0.5, v3, v134
	v_fmac_f32_e32 v6, 0x3e9e377a, v8
	v_fmac_f32_e32 v1, 0x3e9e377a, v8
	v_mov_b32_e32 v8, v3
	v_fmac_f32_e32 v8, 0xbf737871, v2
	v_fmac_f32_e32 v3, 0x3f737871, v2
	;; [unrolled: 1-line block ×4, first 2 shown]
	v_add_f32_e32 v0, v134, v11
	v_add_f32_e32 v0, v0, v9
	;; [unrolled: 1-line block ×4, first 2 shown]
	v_sub_f32_e32 v0, v14, v16
	v_sub_f32_e32 v2, v15, v4
	v_add_f32_e32 v2, v0, v2
	v_add_f32_e32 v0, v16, v4
	v_fma_f32 v0, -0.5, v0, v133
	v_fmac_f32_e32 v8, 0x3e9e377a, v5
	v_fmac_f32_e32 v3, 0x3e9e377a, v5
	v_sub_f32_e32 v9, v9, v12
	v_mov_b32_e32 v5, v0
	v_sub_f32_e32 v11, v11, v13
	v_fmac_f32_e32 v5, 0xbf737871, v9
	v_fmac_f32_e32 v0, 0x3f737871, v9
	;; [unrolled: 1-line block ×6, first 2 shown]
	v_sub_f32_e32 v2, v16, v14
	v_sub_f32_e32 v7, v4, v15
	v_add_f32_e32 v12, v2, v7
	v_add_f32_e32 v2, v14, v15
	v_fma_f32 v2, -0.5, v2, v133
	v_mov_b32_e32 v7, v2
	v_fmac_f32_e32 v7, 0x3f737871, v11
	v_fmac_f32_e32 v2, 0xbf737871, v11
	;; [unrolled: 1-line block ×4, first 2 shown]
	v_add_f32_e32 v9, v133, v16
	v_add_f32_e32 v9, v9, v14
	;; [unrolled: 1-line block ×3, first 2 shown]
	s_movk_i32 s4, 0x55
	v_add_f32_e32 v9, v9, v4
	v_mad_legacy_u16 v4, v141, s4, v142
	v_fmac_f32_e32 v2, 0x3e9e377a, v12
	v_lshlrev_b32_e32 v4, 3, v4
	v_fmac_f32_e32 v7, 0x3e9e377a, v12
	ds_write2_b64 v4, v[9:10], v[2:3] offset1:17
	ds_write2_b64 v4, v[0:1], v[5:6] offset0:34 offset1:51
	ds_write_b64 v4, v[7:8] offset:544
.LBB0_9:
	s_or_b64 exec, exec, s[0:1]
	s_waitcnt lgkmcnt(0)
	s_barrier
	ds_read2_b64 v[24:27], v139 offset1:85
	ds_read2_b64 v[10:13], v139 offset0:170 offset1:255
	v_add_u32_e32 v9, 0x800, v139
	ds_read2_b64 v[14:17], v9 offset0:84 offset1:169
	v_add_u32_e32 v8, 0xc00, v139
	s_waitcnt lgkmcnt(2)
	v_mul_f32_e32 v80, v57, v27
	v_mul_f32_e32 v18, v57, v26
	ds_read2_b64 v[28:31], v8 offset0:126 offset1:211
	v_fmac_f32_e32 v80, v56, v26
	v_fma_f32 v26, v56, v27, -v18
	s_waitcnt lgkmcnt(2)
	v_mul_f32_e32 v27, v59, v11
	v_add_u32_e32 v7, 0x1000, v139
	v_fmac_f32_e32 v27, v58, v10
	v_mul_f32_e32 v10, v59, v10
	ds_read2_b64 v[64:67], v7 offset0:168 offset1:253
	v_fma_f32 v56, v58, v11, -v10
	v_mul_f32_e32 v57, v49, v13
	v_mul_f32_e32 v10, v49, v12
	v_add_u32_e32 v6, 0x1800, v139
	v_add_u32_e32 v5, 0x1c00, v139
	;; [unrolled: 1-line block ×3, first 2 shown]
	v_fmac_f32_e32 v57, v48, v12
	v_fma_f32 v48, v48, v13, -v10
	s_waitcnt lgkmcnt(2)
	v_mul_f32_e32 v49, v51, v15
	v_mul_f32_e32 v10, v51, v14
	ds_read2_b64 v[68:71], v6 offset0:82 offset1:167
	ds_read2_b64 v[72:75], v5 offset0:124 offset1:209
	;; [unrolled: 1-line block ×3, first 2 shown]
	ds_read_b64 v[2:3], v139 offset:10880
	v_fmac_f32_e32 v49, v50, v14
	v_fma_f32 v50, v50, v15, -v10
	v_mul_f32_e32 v10, v41, v16
	v_fma_f32 v23, v40, v17, -v10
	s_waitcnt lgkmcnt(5)
	v_mul_f32_e32 v10, v43, v28
	v_fma_f32 v19, v42, v29, -v10
	v_mul_f32_e32 v10, v33, v30
	v_fma_f32 v15, v32, v31, -v10
	s_waitcnt lgkmcnt(4)
	v_mul_f32_e32 v10, v35, v65
	v_mul_f32_e32 v11, v35, v64
	v_fmac_f32_e32 v10, v34, v64
	v_fma_f32 v11, v34, v65, -v11
	s_waitcnt lgkmcnt(1)
	v_mul_f32_e32 v34, v37, v79
	v_mul_f32_e32 v35, v37, v78
	v_fmac_f32_e32 v34, v36, v78
	v_fma_f32 v35, v36, v79, -v35
	s_waitcnt lgkmcnt(0)
	v_mul_f32_e32 v36, v39, v3
	v_fmac_f32_e32 v36, v38, v2
	v_mul_f32_e32 v2, v39, v2
	v_fma_f32 v37, v38, v3, -v2
	v_add_f32_e32 v3, v25, v26
	v_add_f32_e32 v3, v3, v56
	;; [unrolled: 1-line block ×7, first 2 shown]
	v_mul_f32_e32 v22, v41, v17
	v_add_f32_e32 v2, v2, v57
	v_add_f32_e32 v3, v3, v19
	v_fmac_f32_e32 v22, v40, v16
	v_mul_f32_e32 v18, v43, v29
	v_mul_f32_e32 v13, v61, v66
	v_add_f32_e32 v2, v2, v49
	v_add_f32_e32 v3, v3, v15
	v_fmac_f32_e32 v18, v42, v28
	v_mul_f32_e32 v14, v33, v31
	v_fma_f32 v13, v60, v67, -v13
	v_mul_f32_e32 v17, v63, v68
	v_add_f32_e32 v2, v2, v22
	v_add_f32_e32 v3, v3, v11
	v_fmac_f32_e32 v14, v32, v30
	v_fma_f32 v17, v62, v69, -v17
	v_mul_f32_e32 v21, v53, v70
	v_add_f32_e32 v2, v2, v18
	v_add_f32_e32 v3, v3, v13
	v_mul_f32_e32 v12, v61, v67
	v_fma_f32 v21, v52, v71, -v21
	v_mul_f32_e32 v29, v55, v72
	v_add_f32_e32 v2, v2, v14
	v_add_f32_e32 v3, v3, v17
	v_fmac_f32_e32 v12, v60, v66
	v_mul_f32_e32 v16, v63, v69
	v_fma_f32 v29, v54, v73, -v29
	v_mul_f32_e32 v31, v45, v74
	v_add_f32_e32 v2, v2, v10
	v_add_f32_e32 v3, v3, v21
	v_fmac_f32_e32 v16, v62, v68
	v_mul_f32_e32 v20, v53, v71
	v_fma_f32 v31, v44, v75, -v31
	v_mul_f32_e32 v33, v47, v76
	v_add_f32_e32 v2, v2, v12
	v_add_f32_e32 v3, v3, v29
	v_fmac_f32_e32 v20, v52, v70
	v_mul_f32_e32 v28, v55, v73
	v_fma_f32 v33, v46, v77, -v33
	v_add_f32_e32 v2, v2, v16
	v_add_f32_e32 v3, v3, v31
	v_fmac_f32_e32 v28, v54, v72
	v_mul_f32_e32 v30, v45, v75
	v_add_f32_e32 v2, v2, v20
	v_add_f32_e32 v3, v3, v33
	v_fmac_f32_e32 v30, v44, v74
	v_mul_f32_e32 v32, v47, v77
	v_add_f32_e32 v2, v2, v28
	v_add_f32_e32 v3, v3, v35
	;; [unrolled: 1-line block ×3, first 2 shown]
	v_sub_f32_e32 v26, v26, v37
	v_mad_u64_u32 v[0:1], s[0:1], s10, v108, 0
	v_fmac_f32_e32 v32, v46, v76
	v_add_f32_e32 v2, v2, v30
	v_add_f32_e32 v3, v3, v37
	v_mul_f32_e32 v37, 0xbeb8f4ab, v26
	v_mul_f32_e32 v43, 0xbf2c7751, v26
	;; [unrolled: 1-line block ×8, first 2 shown]
	v_add_f32_e32 v2, v2, v32
	v_add_f32_e32 v38, v80, v36
	s_mov_b32 s6, 0x3f6eb680
	s_mov_b32 s4, 0x3f3d2fb0
	;; [unrolled: 1-line block ×8, first 2 shown]
	v_mov_b32_e32 v72, v26
	v_add_f32_e32 v2, v2, v34
	v_fma_f32 v40, v38, s6, -v37
	v_fmac_f32_e32 v37, 0x3f6eb680, v38
	v_mul_f32_e32 v41, 0x3f6eb680, v39
	v_fma_f32 v44, v38, s4, -v43
	v_fmac_f32_e32 v43, 0x3f3d2fb0, v38
	v_mul_f32_e32 v45, 0x3f3d2fb0, v39
	;; [unrolled: 3-line block ×7, first 2 shown]
	v_fmac_f32_e32 v72, 0xbf7ba420, v38
	v_mul_f32_e32 v39, 0xbf7ba420, v39
	v_fma_f32 v26, v38, s12, -v26
	v_add_f32_e32 v2, v2, v36
	v_sub_f32_e32 v36, v80, v36
	v_add_f32_e32 v37, v24, v37
	v_mov_b32_e32 v42, v41
	v_add_f32_e32 v40, v24, v40
	v_add_f32_e32 v43, v24, v43
	v_mov_b32_e32 v46, v45
	v_add_f32_e32 v44, v24, v44
	;; [unrolled: 3-line block ×8, first 2 shown]
	v_add_f32_e32 v26, v27, v34
	v_sub_f32_e32 v27, v27, v34
	v_sub_f32_e32 v34, v56, v35
	v_fmac_f32_e32 v42, 0x3eb8f4ab, v36
	v_fmac_f32_e32 v41, 0xbeb8f4ab, v36
	;; [unrolled: 1-line block ×16, first 2 shown]
	v_add_f32_e32 v36, v56, v35
	v_mul_f32_e32 v35, 0xbf2c7751, v34
	v_fma_f32 v38, v26, s4, -v35
	v_fmac_f32_e32 v35, 0x3f3d2fb0, v26
	v_add_f32_e32 v35, v35, v37
	v_mul_f32_e32 v37, 0x3f3d2fb0, v36
	v_add_f32_e32 v42, v25, v42
	v_add_f32_e32 v41, v25, v41
	;; [unrolled: 1-line block ×16, first 2 shown]
	v_mov_b32_e32 v39, v37
	v_fmac_f32_e32 v39, 0x3f2c7751, v27
	v_add_f32_e32 v38, v38, v40
	v_fmac_f32_e32 v37, 0xbf2c7751, v27
	v_mul_f32_e32 v40, 0xbf7ee86f, v34
	v_add_f32_e32 v39, v39, v42
	v_add_f32_e32 v37, v37, v41
	v_fma_f32 v41, v26, s0, -v40
	v_fmac_f32_e32 v40, 0x3dbcf732, v26
	v_mul_f32_e32 v42, 0x3dbcf732, v36
	v_add_f32_e32 v40, v40, v43
	v_mov_b32_e32 v43, v42
	v_fmac_f32_e32 v43, 0x3f7ee86f, v27
	v_add_f32_e32 v41, v41, v44
	v_fmac_f32_e32 v42, 0xbf7ee86f, v27
	v_mul_f32_e32 v44, 0xbf4c4adb, v34
	v_add_f32_e32 v43, v43, v46
	v_add_f32_e32 v42, v42, v45
	v_fma_f32 v45, v26, s7, -v44
	v_fmac_f32_e32 v44, 0xbf1a4643, v26
	v_mul_f32_e32 v46, 0xbf1a4643, v36
	v_add_f32_e32 v44, v44, v47
	;; [unrolled: 11-line block ×3, first 2 shown]
	v_mov_b32_e32 v54, v53
	v_add_f32_e32 v52, v52, v55
	v_fmac_f32_e32 v53, 0xbe3c28d5, v27
	v_mul_f32_e32 v55, 0x3f06c442, v34
	v_fmac_f32_e32 v54, 0x3e3c28d5, v27
	v_add_f32_e32 v53, v53, v58
	v_fma_f32 v56, v26, s10, -v55
	v_fmac_f32_e32 v55, 0xbf59a7d5, v26
	v_mul_f32_e32 v58, 0xbf59a7d5, v36
	v_add_f32_e32 v54, v54, v59
	v_add_f32_e32 v55, v55, v60
	v_mov_b32_e32 v59, v58
	v_fmac_f32_e32 v58, 0x3f06c442, v27
	v_mul_f32_e32 v60, 0x3f763a35, v34
	v_fmac_f32_e32 v59, 0xbf06c442, v27
	v_add_f32_e32 v56, v56, v61
	v_add_f32_e32 v58, v58, v62
	v_fma_f32 v61, v26, s5, -v60
	v_fmac_f32_e32 v60, 0xbe8c1d8e, v26
	v_mul_f32_e32 v62, 0xbe8c1d8e, v36
	v_add_f32_e32 v59, v59, v63
	v_add_f32_e32 v60, v60, v64
	v_mov_b32_e32 v63, v62
	v_fmac_f32_e32 v62, 0x3f763a35, v27
	v_mul_f32_e32 v64, 0x3f65296c, v34
	v_fmac_f32_e32 v63, 0xbf763a35, v27
	v_add_f32_e32 v61, v61, v65
	v_add_f32_e32 v62, v62, v66
	v_fma_f32 v65, v26, s1, -v64
	v_fmac_f32_e32 v64, 0x3ee437d1, v26
	v_mul_f32_e32 v66, 0x3ee437d1, v36
	v_mul_f32_e32 v34, 0x3eb8f4ab, v34
	;; [unrolled: 1-line block ×3, first 2 shown]
	v_add_f32_e32 v63, v63, v67
	v_add_f32_e32 v64, v64, v68
	v_mov_b32_e32 v67, v66
	v_add_f32_e32 v65, v65, v69
	v_mov_b32_e32 v68, v34
	v_mov_b32_e32 v69, v36
	v_fmac_f32_e32 v67, 0xbf65296c, v27
	v_fmac_f32_e32 v66, 0x3f65296c, v27
	;; [unrolled: 1-line block ×4, first 2 shown]
	v_fma_f32 v26, v26, s6, -v34
	v_fmac_f32_e32 v36, 0x3eb8f4ab, v27
	v_add_f32_e32 v27, v48, v33
	v_sub_f32_e32 v33, v48, v33
	v_add_f32_e32 v24, v26, v24
	v_add_f32_e32 v26, v57, v32
	v_mul_f32_e32 v34, 0xbf65296c, v33
	v_add_f32_e32 v25, v36, v25
	v_fma_f32 v36, v26, s1, -v34
	v_fmac_f32_e32 v34, 0x3ee437d1, v26
	v_sub_f32_e32 v32, v57, v32
	v_add_f32_e32 v34, v34, v35
	v_mul_f32_e32 v35, 0x3ee437d1, v27
	v_mov_b32_e32 v48, v35
	v_fmac_f32_e32 v35, 0xbf65296c, v32
	v_add_f32_e32 v35, v35, v37
	v_mul_f32_e32 v37, 0xbf4c4adb, v33
	v_add_f32_e32 v36, v36, v38
	v_fma_f32 v38, v26, s7, -v37
	v_fmac_f32_e32 v37, 0xbf1a4643, v26
	v_fmac_f32_e32 v48, 0x3f65296c, v32
	v_add_f32_e32 v37, v37, v40
	v_mul_f32_e32 v40, 0xbf1a4643, v27
	v_add_f32_e32 v39, v48, v39
	v_mov_b32_e32 v48, v40
	v_add_f32_e32 v38, v38, v41
	v_fmac_f32_e32 v40, 0xbf4c4adb, v32
	v_mul_f32_e32 v41, 0x3e3c28d5, v33
	v_add_f32_e32 v40, v40, v42
	v_fma_f32 v42, v26, s12, -v41
	v_fmac_f32_e32 v41, 0xbf7ba420, v26
	v_fmac_f32_e32 v48, 0x3f4c4adb, v32
	v_add_f32_e32 v41, v41, v44
	v_mul_f32_e32 v44, 0xbf7ba420, v27
	v_add_f32_e32 v43, v48, v43
	v_mov_b32_e32 v48, v44
	v_fmac_f32_e32 v48, 0xbe3c28d5, v32
	v_add_f32_e32 v42, v42, v45
	v_fmac_f32_e32 v44, 0x3e3c28d5, v32
	v_mul_f32_e32 v45, 0x3f763a35, v33
	v_add_f32_e32 v47, v48, v47
	v_add_f32_e32 v44, v44, v46
	v_fma_f32 v46, v26, s5, -v45
	v_fmac_f32_e32 v45, 0xbe8c1d8e, v26
	v_mul_f32_e32 v48, 0xbe8c1d8e, v27
	v_add_f32_e32 v45, v45, v51
	v_mov_b32_e32 v51, v48
	v_fmac_f32_e32 v51, 0xbf763a35, v32
	v_add_f32_e32 v46, v46, v52
	v_fmac_f32_e32 v48, 0x3f763a35, v32
	v_mul_f32_e32 v52, 0x3f2c7751, v33
	v_add_f32_e32 v51, v51, v54
	v_add_f32_e32 v48, v48, v53
	v_fma_f32 v53, v26, s4, -v52
	v_fmac_f32_e32 v52, 0x3f3d2fb0, v26
	v_mul_f32_e32 v54, 0x3f3d2fb0, v27
	v_add_f32_e32 v52, v52, v55
	v_mov_b32_e32 v55, v54
	v_add_f32_e32 v53, v53, v56
	v_fmac_f32_e32 v54, 0x3f2c7751, v32
	v_mul_f32_e32 v56, 0xbeb8f4ab, v33
	v_fmac_f32_e32 v55, 0xbf2c7751, v32
	v_add_f32_e32 v54, v54, v58
	v_fma_f32 v57, v26, s6, -v56
	v_fmac_f32_e32 v56, 0x3f6eb680, v26
	v_mul_f32_e32 v58, 0x3f6eb680, v27
	v_add_f32_e32 v55, v55, v59
	v_add_f32_e32 v56, v56, v60
	v_mov_b32_e32 v59, v58
	v_fmac_f32_e32 v58, 0xbeb8f4ab, v32
	v_mul_f32_e32 v60, 0xbf7ee86f, v33
	v_add_f32_e32 v57, v57, v61
	v_add_f32_e32 v58, v58, v62
	v_fma_f32 v61, v26, s0, -v60
	v_fmac_f32_e32 v60, 0x3dbcf732, v26
	v_mul_f32_e32 v62, 0x3dbcf732, v27
	v_mul_f32_e32 v33, 0xbf06c442, v33
	;; [unrolled: 1-line block ×3, first 2 shown]
	v_fmac_f32_e32 v59, 0x3eb8f4ab, v32
	v_add_f32_e32 v60, v60, v64
	v_add_f32_e32 v61, v61, v65
	v_mov_b32_e32 v64, v33
	v_mov_b32_e32 v65, v27
	v_fmac_f32_e32 v27, 0xbf06c442, v32
	v_add_f32_e32 v59, v59, v63
	v_mov_b32_e32 v63, v62
	v_fmac_f32_e32 v64, 0xbf59a7d5, v26
	v_fma_f32 v26, v26, s10, -v33
	v_add_f32_e32 v25, v27, v25
	v_add_f32_e32 v27, v50, v31
	v_sub_f32_e32 v31, v50, v31
	v_fmac_f32_e32 v63, 0x3f7ee86f, v32
	v_fmac_f32_e32 v62, 0xbf7ee86f, v32
	;; [unrolled: 1-line block ×3, first 2 shown]
	v_add_f32_e32 v24, v26, v24
	v_add_f32_e32 v26, v49, v30
	v_mul_f32_e32 v32, 0xbf7ee86f, v31
	v_fma_f32 v33, v26, s0, -v32
	v_fmac_f32_e32 v32, 0x3dbcf732, v26
	v_sub_f32_e32 v30, v49, v30
	v_add_f32_e32 v32, v32, v34
	v_mul_f32_e32 v34, 0x3dbcf732, v27
	v_mov_b32_e32 v49, v34
	v_fmac_f32_e32 v34, 0xbf7ee86f, v30
	v_add_f32_e32 v34, v34, v35
	v_mul_f32_e32 v35, 0xbe3c28d5, v31
	v_add_f32_e32 v33, v33, v36
	v_fma_f32 v36, v26, s12, -v35
	v_fmac_f32_e32 v35, 0xbf7ba420, v26
	v_fmac_f32_e32 v49, 0x3f7ee86f, v30
	v_add_f32_e32 v35, v35, v37
	v_mul_f32_e32 v37, 0xbf7ba420, v27
	v_add_f32_e32 v39, v49, v39
	v_mov_b32_e32 v49, v37
	v_add_f32_e32 v36, v36, v38
	v_fmac_f32_e32 v37, 0xbe3c28d5, v30
	v_mul_f32_e32 v38, 0x3f763a35, v31
	v_add_f32_e32 v37, v37, v40
	v_fma_f32 v40, v26, s5, -v38
	v_fmac_f32_e32 v38, 0xbe8c1d8e, v26
	v_fmac_f32_e32 v49, 0x3e3c28d5, v30
	v_add_f32_e32 v38, v38, v41
	v_mul_f32_e32 v41, 0xbe8c1d8e, v27
	v_add_f32_e32 v43, v49, v43
	v_mov_b32_e32 v49, v41
	v_add_f32_e32 v40, v40, v42
	v_fmac_f32_e32 v41, 0x3f763a35, v30
	;; [unrolled: 11-line block ×3, first 2 shown]
	v_mul_f32_e32 v46, 0xbf65296c, v31
	v_fmac_f32_e32 v49, 0xbeb8f4ab, v30
	v_add_f32_e32 v45, v45, v48
	v_fma_f32 v48, v26, s1, -v46
	v_fmac_f32_e32 v46, 0x3ee437d1, v26
	v_mul_f32_e32 v50, 0x3ee437d1, v27
	v_add_f32_e32 v49, v49, v51
	v_add_f32_e32 v46, v46, v52
	v_mov_b32_e32 v51, v50
	v_fmac_f32_e32 v50, 0xbf65296c, v30
	v_mul_f32_e32 v52, 0xbf06c442, v31
	v_fmac_f32_e32 v51, 0x3f65296c, v30
	v_add_f32_e32 v48, v48, v53
	v_add_f32_e32 v50, v50, v54
	v_fma_f32 v53, v26, s10, -v52
	v_fmac_f32_e32 v52, 0xbf59a7d5, v26
	v_mul_f32_e32 v54, 0xbf59a7d5, v27
	v_add_f32_e32 v51, v51, v55
	v_add_f32_e32 v52, v52, v56
	v_mov_b32_e32 v55, v54
	v_fmac_f32_e32 v54, 0xbf06c442, v30
	v_mul_f32_e32 v56, 0x3f4c4adb, v31
	v_add_f32_e32 v53, v53, v57
	v_add_f32_e32 v54, v54, v58
	v_fma_f32 v57, v26, s7, -v56
	v_fmac_f32_e32 v56, 0xbf1a4643, v26
	v_mul_f32_e32 v58, 0xbf1a4643, v27
	v_mul_f32_e32 v31, 0x3f2c7751, v31
	;; [unrolled: 1-line block ×3, first 2 shown]
	v_add_f32_e32 v56, v56, v60
	v_add_f32_e32 v57, v57, v61
	v_mov_b32_e32 v60, v31
	v_mov_b32_e32 v61, v27
	v_fmac_f32_e32 v27, 0x3f2c7751, v30
	v_fmac_f32_e32 v55, 0x3f06c442, v30
	;; [unrolled: 1-line block ×3, first 2 shown]
	v_fma_f32 v26, v26, s4, -v31
	v_add_f32_e32 v25, v27, v25
	v_add_f32_e32 v27, v23, v29
	v_sub_f32_e32 v23, v23, v29
	v_add_f32_e32 v55, v55, v59
	v_mov_b32_e32 v59, v58
	v_add_f32_e32 v24, v26, v24
	v_add_f32_e32 v26, v22, v28
	v_sub_f32_e32 v22, v22, v28
	v_mul_f32_e32 v28, 0xbf763a35, v23
	v_fmac_f32_e32 v59, 0xbf4c4adb, v30
	v_fmac_f32_e32 v58, 0x3f4c4adb, v30
	;; [unrolled: 1-line block ×3, first 2 shown]
	v_fma_f32 v29, v26, s5, -v28
	v_fmac_f32_e32 v28, 0xbe8c1d8e, v26
	v_mul_f32_e32 v30, 0xbe8c1d8e, v27
	v_add_f32_e32 v28, v28, v32
	v_mov_b32_e32 v31, v30
	v_fmac_f32_e32 v30, 0xbf763a35, v22
	v_mul_f32_e32 v32, 0x3f06c442, v23
	v_add_f32_e32 v29, v29, v33
	v_add_f32_e32 v30, v30, v34
	v_fma_f32 v33, v26, s10, -v32
	v_fmac_f32_e32 v32, 0xbf59a7d5, v26
	v_mul_f32_e32 v34, 0xbf59a7d5, v27
	v_add_f32_e32 v32, v32, v35
	v_mov_b32_e32 v35, v34
	v_add_f32_e32 v33, v33, v36
	v_fmac_f32_e32 v34, 0x3f06c442, v22
	v_mul_f32_e32 v36, 0x3f2c7751, v23
	v_add_f32_e32 v34, v34, v37
	v_fma_f32 v37, v26, s4, -v36
	v_fmac_f32_e32 v36, 0x3f3d2fb0, v26
	v_fmac_f32_e32 v31, 0x3f763a35, v22
	v_add_f32_e32 v36, v36, v38
	v_mul_f32_e32 v38, 0x3f3d2fb0, v27
	v_add_f32_e32 v31, v31, v39
	v_mov_b32_e32 v39, v38
	v_add_f32_e32 v37, v37, v40
	v_fmac_f32_e32 v38, 0x3f2c7751, v22
	v_mul_f32_e32 v40, 0xbf65296c, v23
	v_add_f32_e32 v38, v38, v41
	v_fma_f32 v41, v26, s1, -v40
	v_fmac_f32_e32 v40, 0x3ee437d1, v26
	v_fmac_f32_e32 v35, 0xbf06c442, v22
	v_add_f32_e32 v40, v40, v42
	;; [unrolled: 11-line block ×3, first 2 shown]
	v_mul_f32_e32 v46, 0xbf7ba420, v27
	v_add_f32_e32 v39, v39, v47
	v_fmac_f32_e32 v43, 0x3f65296c, v22
	v_mov_b32_e32 v47, v46
	v_add_f32_e32 v45, v45, v48
	v_fmac_f32_e32 v46, 0xbe3c28d5, v22
	v_mul_f32_e32 v48, 0x3f7ee86f, v23
	v_add_f32_e32 v43, v43, v49
	v_fmac_f32_e32 v47, 0x3e3c28d5, v22
	v_add_f32_e32 v46, v46, v50
	v_fma_f32 v49, v26, s0, -v48
	v_fmac_f32_e32 v48, 0x3dbcf732, v26
	v_mul_f32_e32 v50, 0x3dbcf732, v27
	v_add_f32_e32 v47, v47, v51
	v_add_f32_e32 v48, v48, v52
	v_mov_b32_e32 v51, v50
	v_fmac_f32_e32 v50, 0x3f7ee86f, v22
	v_mul_f32_e32 v52, 0xbeb8f4ab, v23
	v_fmac_f32_e32 v51, 0xbf7ee86f, v22
	v_add_f32_e32 v49, v49, v53
	v_add_f32_e32 v50, v50, v54
	v_fma_f32 v53, v26, s6, -v52
	v_mul_f32_e32 v54, 0x3f6eb680, v27
	v_mul_f32_e32 v27, 0xbf1a4643, v27
	v_add_f32_e32 v51, v51, v55
	v_fmac_f32_e32 v52, 0x3f6eb680, v26
	v_mov_b32_e32 v55, v54
	v_add_f32_e32 v53, v53, v57
	v_mul_f32_e32 v23, 0xbf4c4adb, v23
	v_mov_b32_e32 v57, v27
	v_fmac_f32_e32 v27, 0xbf4c4adb, v22
	v_add_f32_e32 v52, v52, v56
	v_fmac_f32_e32 v55, 0x3eb8f4ab, v22
	v_fmac_f32_e32 v54, 0xbeb8f4ab, v22
	v_mov_b32_e32 v56, v23
	v_fmac_f32_e32 v57, 0x3f4c4adb, v22
	v_fma_f32 v23, v26, s7, -v23
	v_add_f32_e32 v22, v27, v25
	v_add_f32_e32 v25, v19, v21
	v_sub_f32_e32 v19, v19, v21
	v_add_f32_e32 v23, v23, v24
	v_add_f32_e32 v24, v18, v20
	v_sub_f32_e32 v18, v18, v20
	v_mul_f32_e32 v20, 0xbf4c4adb, v19
	v_fma_f32 v21, v24, s7, -v20
	v_fmac_f32_e32 v20, 0xbf1a4643, v24
	v_fmac_f32_e32 v56, 0xbf1a4643, v26
	v_add_f32_e32 v20, v20, v28
	v_mul_f32_e32 v26, 0xbf1a4643, v25
	v_mul_f32_e32 v28, 0x3f763a35, v19
	v_mov_b32_e32 v27, v26
	v_add_f32_e32 v21, v21, v29
	v_fmac_f32_e32 v26, 0xbf4c4adb, v18
	v_fma_f32 v29, v24, s5, -v28
	v_fmac_f32_e32 v28, 0xbe8c1d8e, v24
	v_fmac_f32_e32 v27, 0x3f4c4adb, v18
	v_add_f32_e32 v26, v26, v30
	v_add_f32_e32 v28, v28, v32
	v_mul_f32_e32 v30, 0xbe8c1d8e, v25
	v_mul_f32_e32 v32, 0xbeb8f4ab, v19
	v_add_f32_e32 v27, v27, v31
	v_mov_b32_e32 v31, v30
	v_add_f32_e32 v29, v29, v33
	v_fmac_f32_e32 v30, 0x3f763a35, v18
	v_fma_f32 v33, v24, s6, -v32
	v_fmac_f32_e32 v32, 0x3f6eb680, v24
	v_fmac_f32_e32 v31, 0xbf763a35, v18
	v_add_f32_e32 v30, v30, v34
	v_add_f32_e32 v32, v32, v36
	v_mul_f32_e32 v34, 0x3f6eb680, v25
	v_mul_f32_e32 v36, 0xbf06c442, v19
	v_add_f32_e32 v31, v31, v35
	v_mov_b32_e32 v35, v34
	v_add_f32_e32 v33, v33, v37
	v_fmac_f32_e32 v34, 0xbeb8f4ab, v18
	v_fma_f32 v37, v24, s10, -v36
	v_fmac_f32_e32 v36, 0xbf59a7d5, v24
	v_fmac_f32_e32 v35, 0x3eb8f4ab, v18
	v_add_f32_e32 v34, v34, v38
	v_add_f32_e32 v36, v36, v40
	v_mul_f32_e32 v38, 0xbf59a7d5, v25
	v_mul_f32_e32 v40, 0x3f7ee86f, v19
	v_add_f32_e32 v35, v35, v39
	v_mov_b32_e32 v39, v38
	v_add_f32_e32 v37, v37, v41
	v_fmac_f32_e32 v38, 0xbf06c442, v18
	v_fma_f32 v41, v24, s0, -v40
	v_fmac_f32_e32 v40, 0x3dbcf732, v24
	v_fmac_f32_e32 v39, 0x3f06c442, v18
	v_add_f32_e32 v38, v38, v42
	v_add_f32_e32 v40, v40, v44
	v_mul_f32_e32 v42, 0x3dbcf732, v25
	v_mul_f32_e32 v44, 0xbf2c7751, v19
	v_add_f32_e32 v39, v39, v43
	v_mov_b32_e32 v43, v42
	v_add_f32_e32 v41, v41, v45
	v_fmac_f32_e32 v42, 0x3f7ee86f, v18
	v_fma_f32 v45, v24, s4, -v44
	v_fmac_f32_e32 v44, 0x3f3d2fb0, v24
	v_fmac_f32_e32 v43, 0xbf7ee86f, v18
	v_add_f32_e32 v42, v42, v46
	v_add_f32_e32 v44, v44, v48
	v_mul_f32_e32 v46, 0x3f3d2fb0, v25
	v_mul_f32_e32 v48, 0xbe3c28d5, v19
	v_add_f32_e32 v43, v43, v47
	v_mov_b32_e32 v47, v46
	v_add_f32_e32 v45, v45, v49
	v_fmac_f32_e32 v46, 0xbf2c7751, v18
	v_fma_f32 v49, v24, s12, -v48
	v_fmac_f32_e32 v48, 0xbf7ba420, v24
	v_mul_f32_e32 v19, 0x3f65296c, v19
	v_fmac_f32_e32 v47, 0x3f2c7751, v18
	v_add_f32_e32 v46, v46, v50
	v_add_f32_e32 v48, v48, v52
	v_mul_f32_e32 v50, 0xbf7ba420, v25
	v_mov_b32_e32 v52, v19
	v_mul_f32_e32 v25, 0x3ee437d1, v25
	v_fma_f32 v19, v24, s1, -v19
	v_add_f32_e32 v47, v47, v51
	v_mov_b32_e32 v51, v50
	v_add_f32_e32 v49, v49, v53
	v_mov_b32_e32 v53, v25
	v_add_f32_e32 v19, v19, v23
	v_fmac_f32_e32 v25, 0x3f65296c, v18
	v_add_f32_e32 v23, v15, v17
	v_sub_f32_e32 v15, v15, v17
	v_fmac_f32_e32 v51, 0x3e3c28d5, v18
	v_fmac_f32_e32 v50, 0xbe3c28d5, v18
	;; [unrolled: 1-line block ×3, first 2 shown]
	v_add_f32_e32 v18, v25, v22
	v_add_f32_e32 v22, v14, v16
	v_sub_f32_e32 v14, v14, v16
	v_mul_f32_e32 v16, 0xbf06c442, v15
	v_fma_f32 v17, v22, s10, -v16
	v_fmac_f32_e32 v16, 0xbf59a7d5, v22
	v_add_f32_e32 v16, v16, v20
	v_mul_f32_e32 v20, 0xbf59a7d5, v23
	v_add_f32_e32 v17, v17, v21
	v_mul_f32_e32 v21, 0x3f65296c, v15
	v_fmac_f32_e32 v52, 0x3ee437d1, v24
	v_mov_b32_e32 v24, v20
	v_fmac_f32_e32 v20, 0xbf06c442, v14
	v_fma_f32 v25, v22, s1, -v21
	v_fmac_f32_e32 v21, 0x3ee437d1, v22
	v_fmac_f32_e32 v24, 0x3f06c442, v14
	v_add_f32_e32 v20, v20, v26
	v_add_f32_e32 v21, v21, v28
	v_mul_f32_e32 v26, 0x3ee437d1, v23
	v_mul_f32_e32 v28, 0xbf7ee86f, v15
	v_add_f32_e32 v24, v24, v27
	v_mov_b32_e32 v27, v26
	v_add_f32_e32 v25, v25, v29
	v_fmac_f32_e32 v26, 0x3f65296c, v14
	v_fma_f32 v29, v22, s0, -v28
	v_fmac_f32_e32 v28, 0x3dbcf732, v22
	v_fmac_f32_e32 v27, 0xbf65296c, v14
	v_add_f32_e32 v26, v26, v30
	v_add_f32_e32 v28, v28, v32
	v_mul_f32_e32 v30, 0x3dbcf732, v23
	v_mul_f32_e32 v32, 0x3f4c4adb, v15
	v_add_f32_e32 v27, v27, v31
	v_mov_b32_e32 v31, v30
	v_add_f32_e32 v29, v29, v33
	;; [unrolled: 11-line block ×3, first 2 shown]
	v_fmac_f32_e32 v34, 0x3f4c4adb, v14
	v_fma_f32 v37, v22, s6, -v36
	v_fmac_f32_e32 v36, 0x3f6eb680, v22
	v_fmac_f32_e32 v35, 0xbf4c4adb, v14
	v_add_f32_e32 v34, v34, v38
	v_add_f32_e32 v36, v36, v40
	v_mul_f32_e32 v38, 0x3f6eb680, v23
	v_mul_f32_e32 v40, 0xbe3c28d5, v15
	v_add_f32_e32 v67, v67, v71
	v_add_f32_e32 v68, v68, v72
	;; [unrolled: 1-line block ×3, first 2 shown]
	v_mov_b32_e32 v39, v38
	v_add_f32_e32 v37, v37, v41
	v_fmac_f32_e32 v38, 0xbeb8f4ab, v14
	v_fma_f32 v41, v22, s12, -v40
	v_fmac_f32_e32 v40, 0xbf7ba420, v22
	v_add_f32_e32 v66, v66, v70
	v_add_f32_e32 v69, v69, v73
	;; [unrolled: 1-line block ×4, first 2 shown]
	v_fmac_f32_e32 v39, 0x3eb8f4ab, v14
	v_add_f32_e32 v38, v38, v42
	v_add_f32_e32 v40, v40, v44
	v_mul_f32_e32 v42, 0xbf7ba420, v23
	v_mul_f32_e32 v44, 0x3f2c7751, v15
	v_add_f32_e32 v62, v62, v66
	v_add_f32_e32 v65, v65, v69
	;; [unrolled: 1-line block ×5, first 2 shown]
	v_mov_b32_e32 v43, v42
	v_add_f32_e32 v41, v41, v45
	v_fmac_f32_e32 v42, 0xbe3c28d5, v14
	v_fma_f32 v45, v22, s4, -v44
	v_fmac_f32_e32 v44, 0x3f3d2fb0, v22
	v_mul_f32_e32 v15, 0xbf763a35, v15
	v_add_f32_e32 v58, v58, v62
	v_add_f32_e32 v61, v61, v65
	;; [unrolled: 1-line block ×6, first 2 shown]
	v_mul_f32_e32 v46, 0x3f3d2fb0, v23
	v_mov_b32_e32 v48, v15
	v_mul_f32_e32 v23, 0xbe8c1d8e, v23
	v_add_f32_e32 v54, v54, v58
	v_add_f32_e32 v57, v57, v61
	;; [unrolled: 1-line block ×4, first 2 shown]
	v_fmac_f32_e32 v43, 0x3e3c28d5, v14
	v_add_f32_e32 v45, v45, v49
	v_fmac_f32_e32 v48, 0xbe8c1d8e, v22
	v_mov_b32_e32 v49, v23
	v_sub_f32_e32 v55, v11, v13
	v_add_f32_e32 v50, v50, v54
	v_add_f32_e32 v53, v53, v57
	;; [unrolled: 1-line block ×3, first 2 shown]
	v_mov_b32_e32 v47, v46
	v_add_f32_e32 v48, v48, v52
	v_fmac_f32_e32 v49, 0x3f763a35, v14
	v_add_f32_e32 v52, v10, v12
	v_sub_f32_e32 v54, v10, v12
	v_mul_f32_e32 v10, 0xbe3c28d5, v55
	v_fmac_f32_e32 v47, 0xbf2c7751, v14
	v_fmac_f32_e32 v46, 0x3f2c7751, v14
	v_add_f32_e32 v49, v49, v53
	v_fmac_f32_e32 v23, 0xbf763a35, v14
	v_add_f32_e32 v53, v11, v13
	v_fma_f32 v12, v52, s12, -v10
	v_fmac_f32_e32 v10, 0xbf7ba420, v52
	v_mul_f32_e32 v14, 0x3eb8f4ab, v55
	v_add_f32_e32 v10, v10, v16
	v_mul_f32_e32 v13, 0xbf7ba420, v53
	v_fma_f32 v16, v52, s6, -v14
	v_fmac_f32_e32 v14, 0x3f6eb680, v52
	v_add_f32_e32 v47, v47, v51
	v_fma_f32 v15, v22, s5, -v15
	v_add_f32_e32 v51, v23, v18
	v_mov_b32_e32 v11, v13
	v_add_f32_e32 v12, v12, v17
	v_fmac_f32_e32 v13, 0xbe3c28d5, v54
	v_add_f32_e32 v14, v14, v21
	v_mul_f32_e32 v17, 0x3f6eb680, v53
	v_mul_f32_e32 v18, 0xbf06c442, v55
	;; [unrolled: 1-line block ×3, first 2 shown]
	v_add_f32_e32 v46, v46, v50
	v_add_f32_e32 v50, v15, v19
	v_fmac_f32_e32 v11, 0x3e3c28d5, v54
	v_add_f32_e32 v13, v13, v20
	v_mov_b32_e32 v15, v17
	v_fmac_f32_e32 v17, 0x3eb8f4ab, v54
	v_fma_f32 v20, v52, s10, -v18
	v_mov_b32_e32 v19, v21
	v_fmac_f32_e32 v21, 0xbf06c442, v54
	v_mul_f32_e32 v22, 0x3f2c7751, v55
	v_add_f32_e32 v11, v11, v24
	v_fmac_f32_e32 v15, 0xbeb8f4ab, v54
	v_add_f32_e32 v16, v16, v25
	v_add_f32_e32 v17, v17, v26
	v_fmac_f32_e32 v18, 0xbf59a7d5, v52
	v_add_f32_e32 v20, v20, v29
	v_add_f32_e32 v21, v21, v30
	v_fma_f32 v24, v52, s4, -v22
	v_fmac_f32_e32 v22, 0x3f3d2fb0, v52
	v_mul_f32_e32 v25, 0x3f3d2fb0, v53
	v_mul_f32_e32 v26, 0xbf4c4adb, v55
	;; [unrolled: 1-line block ×4, first 2 shown]
	v_add_f32_e32 v15, v15, v27
	v_add_f32_e32 v18, v18, v28
	;; [unrolled: 1-line block ×3, first 2 shown]
	v_mov_b32_e32 v23, v25
	v_fma_f32 v28, v52, s7, -v26
	v_mov_b32_e32 v27, v29
	v_fma_f32 v32, v52, s1, -v30
	v_fmac_f32_e32 v30, 0x3ee437d1, v52
	v_fmac_f32_e32 v19, 0x3f06c442, v54
	v_fmac_f32_e32 v23, 0xbf2c7751, v54
	v_add_f32_e32 v24, v24, v33
	v_fmac_f32_e32 v25, 0x3f2c7751, v54
	v_fmac_f32_e32 v27, 0x3f4c4adb, v54
	v_add_f32_e32 v28, v28, v37
	v_fmac_f32_e32 v29, 0xbf4c4adb, v54
	v_add_f32_e32 v30, v30, v40
	v_mul_f32_e32 v33, 0x3ee437d1, v53
	v_add_f32_e32 v32, v32, v41
	v_mul_f32_e32 v37, 0xbe8c1d8e, v53
	v_mul_f32_e32 v40, 0x3f7ee86f, v55
	;; [unrolled: 1-line block ×3, first 2 shown]
	v_add_f32_e32 v19, v19, v31
	v_add_f32_e32 v23, v23, v35
	;; [unrolled: 1-line block ×3, first 2 shown]
	v_fmac_f32_e32 v26, 0xbf1a4643, v52
	v_add_f32_e32 v27, v27, v39
	v_add_f32_e32 v29, v29, v38
	v_mov_b32_e32 v31, v33
	v_mul_f32_e32 v34, 0xbf763a35, v55
	v_mov_b32_e32 v35, v37
	v_mov_b32_e32 v38, v40
	;; [unrolled: 1-line block ×3, first 2 shown]
	v_add_f32_e32 v26, v26, v36
	v_fmac_f32_e32 v31, 0xbf65296c, v54
	v_fmac_f32_e32 v33, 0x3f65296c, v54
	v_fma_f32 v36, v52, s5, -v34
	v_fmac_f32_e32 v34, 0xbe8c1d8e, v52
	v_fmac_f32_e32 v35, 0x3f763a35, v54
	;; [unrolled: 1-line block ×5, first 2 shown]
	v_fma_f32 v40, v52, s0, -v40
	v_fmac_f32_e32 v41, 0x3f7ee86f, v54
	v_add_f32_e32 v31, v31, v43
	v_add_f32_e32 v33, v33, v42
	;; [unrolled: 1-line block ×10, first 2 shown]
	ds_write2_b64 v139, v[2:3], v[10:11] offset1:85
	ds_write2_b64 v139, v[14:15], v[18:19] offset0:170 offset1:255
	ds_write2_b64 v9, v[22:23], v[26:27] offset0:84 offset1:169
	;; [unrolled: 1-line block ×7, first 2 shown]
	ds_write_b64 v139, v[12:13] offset:10880
	s_waitcnt lgkmcnt(0)
	s_barrier
	ds_read2_b64 v[10:13], v139 offset1:85
	s_mov_b32 s0, 0xda71079e
	s_mov_b32 s1, 0x3f46ad43
	v_mad_u64_u32 v[14:15], s[4:5], s8, v140, 0
	s_waitcnt lgkmcnt(0)
	v_mul_f32_e32 v2, v126, v11
	v_fmac_f32_e32 v2, v125, v10
	v_cvt_f64_f32_e32 v[2:3], v2
	v_mul_f32_e32 v10, v126, v10
	v_fma_f32 v10, v125, v11, -v10
	v_cvt_f64_f32_e32 v[10:11], v10
	v_mul_f64 v[2:3], v[2:3], s[0:1]
	v_mul_f64 v[10:11], v[10:11], s[0:1]
	v_mad_u64_u32 v[16:17], s[4:5], s11, v108, v[1:2]
	v_mov_b32_e32 v1, v15
	v_mad_u64_u32 v[17:18], s[4:5], s9, v140, v[1:2]
	v_cvt_f32_f64_e32 v2, v[2:3]
	v_cvt_f32_f64_e32 v3, v[10:11]
	v_mul_f32_e32 v10, v124, v13
	v_fmac_f32_e32 v10, v123, v12
	v_mul_f32_e32 v12, v124, v12
	v_mov_b32_e32 v1, v16
	v_fma_f32 v12, v123, v13, -v12
	v_lshlrev_b64 v[0:1], 3, v[0:1]
	v_cvt_f64_f32_e32 v[10:11], v10
	v_cvt_f64_f32_e32 v[12:13], v12
	v_mov_b32_e32 v15, v17
	v_mov_b32_e32 v16, s3
	v_add_co_u32_e32 v17, vcc, s2, v0
	v_addc_co_u32_e32 v16, vcc, v16, v1, vcc
	v_lshlrev_b64 v[0:1], 3, v[14:15]
	v_mul_f64 v[10:11], v[10:11], s[0:1]
	v_mul_f64 v[12:13], v[12:13], s[0:1]
	v_add_co_u32_e32 v14, vcc, v17, v0
	v_addc_co_u32_e32 v15, vcc, v16, v1, vcc
	global_store_dwordx2 v[14:15], v[2:3], off
	ds_read2_b64 v[0:3], v139 offset0:170 offset1:255
	v_cvt_f32_f64_e32 v10, v[10:11]
	v_cvt_f32_f64_e32 v11, v[12:13]
	s_mul_i32 s2, s9, 0x2a8
	s_mul_hi_u32 s3, s8, 0x2a8
	s_waitcnt lgkmcnt(0)
	v_mul_f32_e32 v12, v122, v1
	v_fmac_f32_e32 v12, v121, v0
	v_mul_f32_e32 v0, v122, v0
	v_fma_f32 v0, v121, v1, -v0
	v_cvt_f64_f32_e32 v[0:1], v0
	v_cvt_f64_f32_e32 v[12:13], v12
	s_add_i32 s2, s3, s2
	s_mul_i32 s3, s8, 0x2a8
	v_mul_f64 v[0:1], v[0:1], s[0:1]
	v_mul_f64 v[12:13], v[12:13], s[0:1]
	v_mov_b32_e32 v16, s2
	v_add_co_u32_e32 v14, vcc, s3, v14
	v_addc_co_u32_e32 v15, vcc, v15, v16, vcc
	global_store_dwordx2 v[14:15], v[10:11], off
	v_cvt_f32_f64_e32 v11, v[0:1]
	v_mul_f32_e32 v0, v116, v3
	v_fmac_f32_e32 v0, v115, v2
	v_cvt_f32_f64_e32 v10, v[12:13]
	v_cvt_f64_f32_e32 v[12:13], v0
	v_mul_f32_e32 v0, v116, v2
	v_fma_f32 v0, v115, v3, -v0
	v_cvt_f64_f32_e32 v[16:17], v0
	ds_read2_b64 v[0:3], v9 offset0:84 offset1:169
	v_mov_b32_e32 v18, s2
	v_add_co_u32_e32 v14, vcc, s3, v14
	v_addc_co_u32_e32 v15, vcc, v15, v18, vcc
	global_store_dwordx2 v[14:15], v[10:11], off
	v_mul_f64 v[9:10], v[12:13], s[0:1]
	s_waitcnt lgkmcnt(0)
	v_mul_f32_e32 v13, v120, v1
	v_mul_f64 v[11:12], v[16:17], s[0:1]
	v_fmac_f32_e32 v13, v119, v0
	v_mul_f32_e32 v0, v120, v0
	v_fma_f32 v0, v119, v1, -v0
	v_cvt_f64_f32_e32 v[0:1], v0
	v_cvt_f64_f32_e32 v[16:17], v13
	v_cvt_f32_f64_e32 v9, v[9:10]
	v_add_co_u32_e32 v13, vcc, s3, v14
	v_mul_f64 v[0:1], v[0:1], s[0:1]
	v_cvt_f32_f64_e32 v10, v[11:12]
	v_mul_f64 v[11:12], v[16:17], s[0:1]
	v_mov_b32_e32 v16, s2
	v_addc_co_u32_e32 v14, vcc, v15, v16, vcc
	global_store_dwordx2 v[13:14], v[9:10], off
	v_mov_b32_e32 v17, s2
	v_cvt_f32_f64_e32 v10, v[0:1]
	v_mul_f32_e32 v0, v114, v3
	v_fmac_f32_e32 v0, v113, v2
	v_cvt_f32_f64_e32 v9, v[11:12]
	v_cvt_f64_f32_e32 v[11:12], v0
	v_mul_f32_e32 v0, v114, v2
	v_fma_f32 v0, v113, v3, -v0
	v_cvt_f64_f32_e32 v[15:16], v0
	ds_read2_b64 v[0:3], v8 offset0:126 offset1:211
	v_add_co_u32_e32 v13, vcc, s3, v13
	v_addc_co_u32_e32 v14, vcc, v14, v17, vcc
	global_store_dwordx2 v[13:14], v[9:10], off
	v_mul_f64 v[8:9], v[11:12], s[0:1]
	s_waitcnt lgkmcnt(0)
	v_mul_f32_e32 v12, v110, v1
	v_mul_f64 v[10:11], v[15:16], s[0:1]
	v_fmac_f32_e32 v12, v109, v0
	v_mul_f32_e32 v0, v110, v0
	v_fma_f32 v0, v109, v1, -v0
	v_cvt_f64_f32_e32 v[0:1], v0
	v_cvt_f64_f32_e32 v[15:16], v12
	v_cvt_f32_f64_e32 v8, v[8:9]
	v_add_co_u32_e32 v12, vcc, s3, v13
	v_mul_f64 v[0:1], v[0:1], s[0:1]
	v_cvt_f32_f64_e32 v9, v[10:11]
	v_mul_f64 v[10:11], v[15:16], s[0:1]
	v_mov_b32_e32 v15, s2
	v_addc_co_u32_e32 v13, vcc, v14, v15, vcc
	global_store_dwordx2 v[12:13], v[8:9], off
	v_mov_b32_e32 v16, s2
	v_cvt_f32_f64_e32 v9, v[0:1]
	v_mul_f32_e32 v0, v118, v3
	v_fmac_f32_e32 v0, v117, v2
	v_cvt_f32_f64_e32 v8, v[10:11]
	v_cvt_f64_f32_e32 v[10:11], v0
	v_mul_f32_e32 v0, v118, v2
	v_fma_f32 v0, v117, v3, -v0
	v_cvt_f64_f32_e32 v[14:15], v0
	ds_read2_b64 v[0:3], v7 offset0:168 offset1:253
	;; [unrolled: 30-line block ×5, first 2 shown]
	v_add_co_u32_e32 v9, vcc, s3, v9
	v_addc_co_u32_e32 v10, vcc, v10, v13, vcc
	global_store_dwordx2 v[9:10], v[5:6], off
	v_mul_f64 v[4:5], v[7:8], s[0:1]
	s_waitcnt lgkmcnt(0)
	v_mul_f32_e32 v8, v97, v1
	v_fmac_f32_e32 v8, v96, v0
	v_mul_f32_e32 v0, v97, v0
	v_mul_f64 v[6:7], v[11:12], s[0:1]
	v_fma_f32 v0, v96, v1, -v0
	v_cvt_f64_f32_e32 v[0:1], v0
	v_cvt_f64_f32_e32 v[11:12], v8
	v_cvt_f32_f64_e32 v4, v[4:5]
	v_add_co_u32_e32 v8, vcc, s3, v9
	v_mul_f64 v[0:1], v[0:1], s[0:1]
	v_cvt_f32_f64_e32 v5, v[6:7]
	v_mul_f64 v[6:7], v[11:12], s[0:1]
	v_mov_b32_e32 v11, s2
	v_addc_co_u32_e32 v9, vcc, v10, v11, vcc
	global_store_dwordx2 v[8:9], v[4:5], off
	v_mov_b32_e32 v10, s2
	v_cvt_f32_f64_e32 v5, v[0:1]
	v_mul_f32_e32 v0, v95, v3
	v_fmac_f32_e32 v0, v94, v2
	v_mul_f32_e32 v2, v95, v2
	v_fma_f32 v2, v94, v3, -v2
	v_cvt_f32_f64_e32 v4, v[6:7]
	v_cvt_f64_f32_e32 v[0:1], v0
	v_cvt_f64_f32_e32 v[2:3], v2
	ds_read_b64 v[6:7], v139 offset:10880
	v_add_co_u32_e32 v8, vcc, s3, v8
	v_addc_co_u32_e32 v9, vcc, v9, v10, vcc
	v_mul_f64 v[0:1], v[0:1], s[0:1]
	v_mul_f64 v[2:3], v[2:3], s[0:1]
	global_store_dwordx2 v[8:9], v[4:5], off
	s_waitcnt lgkmcnt(0)
	v_mul_f32_e32 v4, v93, v7
	v_fmac_f32_e32 v4, v92, v6
	v_mul_f32_e32 v6, v93, v6
	v_fma_f32 v6, v92, v7, -v6
	v_cvt_f64_f32_e32 v[4:5], v4
	v_cvt_f64_f32_e32 v[6:7], v6
	v_cvt_f32_f64_e32 v0, v[0:1]
	v_cvt_f32_f64_e32 v1, v[2:3]
	v_mul_f64 v[2:3], v[4:5], s[0:1]
	v_mul_f64 v[4:5], v[6:7], s[0:1]
	v_mov_b32_e32 v7, s2
	v_add_co_u32_e32 v6, vcc, s3, v8
	v_addc_co_u32_e32 v7, vcc, v9, v7, vcc
	global_store_dwordx2 v[6:7], v[0:1], off
	v_cvt_f32_f64_e32 v0, v[2:3]
	v_cvt_f32_f64_e32 v1, v[4:5]
	v_mov_b32_e32 v3, s2
	v_add_co_u32_e32 v2, vcc, s3, v6
	v_addc_co_u32_e32 v3, vcc, v7, v3, vcc
	global_store_dwordx2 v[2:3], v[0:1], off
.LBB0_10:
	s_endpgm
	.section	.rodata,"a",@progbits
	.p2align	6, 0x0
	.amdhsa_kernel bluestein_single_fwd_len1445_dim1_sp_op_CI_CI
		.amdhsa_group_segment_fixed_size 11560
		.amdhsa_private_segment_fixed_size 0
		.amdhsa_kernarg_size 104
		.amdhsa_user_sgpr_count 6
		.amdhsa_user_sgpr_private_segment_buffer 1
		.amdhsa_user_sgpr_dispatch_ptr 0
		.amdhsa_user_sgpr_queue_ptr 0
		.amdhsa_user_sgpr_kernarg_segment_ptr 1
		.amdhsa_user_sgpr_dispatch_id 0
		.amdhsa_user_sgpr_flat_scratch_init 0
		.amdhsa_user_sgpr_private_segment_size 0
		.amdhsa_uses_dynamic_stack 0
		.amdhsa_system_sgpr_private_segment_wavefront_offset 0
		.amdhsa_system_sgpr_workgroup_id_x 1
		.amdhsa_system_sgpr_workgroup_id_y 0
		.amdhsa_system_sgpr_workgroup_id_z 0
		.amdhsa_system_sgpr_workgroup_info 0
		.amdhsa_system_vgpr_workitem_id 0
		.amdhsa_next_free_vgpr 187
		.amdhsa_next_free_sgpr 20
		.amdhsa_reserve_vcc 1
		.amdhsa_reserve_flat_scratch 0
		.amdhsa_float_round_mode_32 0
		.amdhsa_float_round_mode_16_64 0
		.amdhsa_float_denorm_mode_32 3
		.amdhsa_float_denorm_mode_16_64 3
		.amdhsa_dx10_clamp 1
		.amdhsa_ieee_mode 1
		.amdhsa_fp16_overflow 0
		.amdhsa_exception_fp_ieee_invalid_op 0
		.amdhsa_exception_fp_denorm_src 0
		.amdhsa_exception_fp_ieee_div_zero 0
		.amdhsa_exception_fp_ieee_overflow 0
		.amdhsa_exception_fp_ieee_underflow 0
		.amdhsa_exception_fp_ieee_inexact 0
		.amdhsa_exception_int_div_zero 0
	.end_amdhsa_kernel
	.text
.Lfunc_end0:
	.size	bluestein_single_fwd_len1445_dim1_sp_op_CI_CI, .Lfunc_end0-bluestein_single_fwd_len1445_dim1_sp_op_CI_CI
                                        ; -- End function
	.section	.AMDGPU.csdata,"",@progbits
; Kernel info:
; codeLenInByte = 28260
; NumSgprs: 24
; NumVgprs: 187
; ScratchSize: 0
; MemoryBound: 0
; FloatMode: 240
; IeeeMode: 1
; LDSByteSize: 11560 bytes/workgroup (compile time only)
; SGPRBlocks: 2
; VGPRBlocks: 46
; NumSGPRsForWavesPerEU: 24
; NumVGPRsForWavesPerEU: 187
; Occupancy: 1
; WaveLimiterHint : 1
; COMPUTE_PGM_RSRC2:SCRATCH_EN: 0
; COMPUTE_PGM_RSRC2:USER_SGPR: 6
; COMPUTE_PGM_RSRC2:TRAP_HANDLER: 0
; COMPUTE_PGM_RSRC2:TGID_X_EN: 1
; COMPUTE_PGM_RSRC2:TGID_Y_EN: 0
; COMPUTE_PGM_RSRC2:TGID_Z_EN: 0
; COMPUTE_PGM_RSRC2:TIDIG_COMP_CNT: 0
	.type	__hip_cuid_9c108c36f3e8e8a1,@object ; @__hip_cuid_9c108c36f3e8e8a1
	.section	.bss,"aw",@nobits
	.globl	__hip_cuid_9c108c36f3e8e8a1
__hip_cuid_9c108c36f3e8e8a1:
	.byte	0                               ; 0x0
	.size	__hip_cuid_9c108c36f3e8e8a1, 1

	.ident	"AMD clang version 19.0.0git (https://github.com/RadeonOpenCompute/llvm-project roc-6.4.0 25133 c7fe45cf4b819c5991fe208aaa96edf142730f1d)"
	.section	".note.GNU-stack","",@progbits
	.addrsig
	.addrsig_sym __hip_cuid_9c108c36f3e8e8a1
	.amdgpu_metadata
---
amdhsa.kernels:
  - .args:
      - .actual_access:  read_only
        .address_space:  global
        .offset:         0
        .size:           8
        .value_kind:     global_buffer
      - .actual_access:  read_only
        .address_space:  global
        .offset:         8
        .size:           8
        .value_kind:     global_buffer
      - .actual_access:  read_only
        .address_space:  global
        .offset:         16
        .size:           8
        .value_kind:     global_buffer
      - .actual_access:  read_only
        .address_space:  global
        .offset:         24
        .size:           8
        .value_kind:     global_buffer
      - .actual_access:  read_only
        .address_space:  global
        .offset:         32
        .size:           8
        .value_kind:     global_buffer
      - .offset:         40
        .size:           8
        .value_kind:     by_value
      - .address_space:  global
        .offset:         48
        .size:           8
        .value_kind:     global_buffer
      - .address_space:  global
        .offset:         56
        .size:           8
        .value_kind:     global_buffer
      - .address_space:  global
        .offset:         64
        .size:           8
        .value_kind:     global_buffer
      - .address_space:  global
        .offset:         72
        .size:           8
        .value_kind:     global_buffer
      - .offset:         80
        .size:           4
        .value_kind:     by_value
      - .address_space:  global
        .offset:         88
        .size:           8
        .value_kind:     global_buffer
      - .address_space:  global
        .offset:         96
        .size:           8
        .value_kind:     global_buffer
    .group_segment_fixed_size: 11560
    .kernarg_segment_align: 8
    .kernarg_segment_size: 104
    .language:       OpenCL C
    .language_version:
      - 2
      - 0
    .max_flat_workgroup_size: 85
    .name:           bluestein_single_fwd_len1445_dim1_sp_op_CI_CI
    .private_segment_fixed_size: 0
    .sgpr_count:     24
    .sgpr_spill_count: 0
    .symbol:         bluestein_single_fwd_len1445_dim1_sp_op_CI_CI.kd
    .uniform_work_group_size: 1
    .uses_dynamic_stack: false
    .vgpr_count:     187
    .vgpr_spill_count: 0
    .wavefront_size: 64
amdhsa.target:   amdgcn-amd-amdhsa--gfx906
amdhsa.version:
  - 1
  - 2
...

	.end_amdgpu_metadata
